;; amdgpu-corpus repo=ROCm/rocFFT kind=compiled arch=gfx906 opt=O3
	.text
	.amdgcn_target "amdgcn-amd-amdhsa--gfx906"
	.amdhsa_code_object_version 6
	.protected	fft_rtc_back_len945_factors_3_3_3_5_7_wgs_63_tpt_63_halfLds_dp_op_CI_CI_sbrr_dirReg ; -- Begin function fft_rtc_back_len945_factors_3_3_3_5_7_wgs_63_tpt_63_halfLds_dp_op_CI_CI_sbrr_dirReg
	.globl	fft_rtc_back_len945_factors_3_3_3_5_7_wgs_63_tpt_63_halfLds_dp_op_CI_CI_sbrr_dirReg
	.p2align	8
	.type	fft_rtc_back_len945_factors_3_3_3_5_7_wgs_63_tpt_63_halfLds_dp_op_CI_CI_sbrr_dirReg,@function
fft_rtc_back_len945_factors_3_3_3_5_7_wgs_63_tpt_63_halfLds_dp_op_CI_CI_sbrr_dirReg: ; @fft_rtc_back_len945_factors_3_3_3_5_7_wgs_63_tpt_63_halfLds_dp_op_CI_CI_sbrr_dirReg
; %bb.0:
	s_load_dwordx4 s[16:19], s[4:5], 0x18
	s_load_dwordx4 s[8:11], s[4:5], 0x0
	;; [unrolled: 1-line block ×3, first 2 shown]
	v_mul_u32_u24_e32 v1, 0x411, v0
	v_add_u32_sdwa v6, s6, v1 dst_sel:DWORD dst_unused:UNUSED_PAD src0_sel:DWORD src1_sel:WORD_1
	s_waitcnt lgkmcnt(0)
	s_load_dwordx2 s[20:21], s[16:17], 0x0
	s_load_dwordx2 s[2:3], s[18:19], 0x0
	v_cmp_lt_u64_e64 s[0:1], s[10:11], 2
	v_mov_b32_e32 v1, 0
	v_mov_b32_e32 v4, 0
	;; [unrolled: 1-line block ×3, first 2 shown]
	s_and_b64 vcc, exec, s[0:1]
	v_mov_b32_e32 v5, 0
	s_cbranch_vccnz .LBB0_8
; %bb.1:
	s_load_dwordx2 s[0:1], s[4:5], 0x10
	s_add_u32 s6, s18, 8
	s_addc_u32 s7, s19, 0
	s_add_u32 s22, s16, 8
	v_mov_b32_e32 v4, 0
	s_addc_u32 s23, s17, 0
	v_mov_b32_e32 v5, 0
	s_waitcnt lgkmcnt(0)
	s_add_u32 s24, s0, 8
	v_mov_b32_e32 v73, v5
	s_addc_u32 s25, s1, 0
	s_mov_b64 s[26:27], 1
	v_mov_b32_e32 v72, v4
.LBB0_2:                                ; =>This Inner Loop Header: Depth=1
	s_load_dwordx2 s[28:29], s[24:25], 0x0
                                        ; implicit-def: $vgpr74_vgpr75
	s_waitcnt lgkmcnt(0)
	v_or_b32_e32 v2, s29, v7
	v_cmp_ne_u64_e32 vcc, 0, v[1:2]
	s_and_saveexec_b64 s[0:1], vcc
	s_xor_b64 s[30:31], exec, s[0:1]
	s_cbranch_execz .LBB0_4
; %bb.3:                                ;   in Loop: Header=BB0_2 Depth=1
	v_cvt_f32_u32_e32 v2, s28
	v_cvt_f32_u32_e32 v3, s29
	s_sub_u32 s0, 0, s28
	s_subb_u32 s1, 0, s29
	v_mac_f32_e32 v2, 0x4f800000, v3
	v_rcp_f32_e32 v2, v2
	v_mul_f32_e32 v2, 0x5f7ffffc, v2
	v_mul_f32_e32 v3, 0x2f800000, v2
	v_trunc_f32_e32 v3, v3
	v_mac_f32_e32 v2, 0xcf800000, v3
	v_cvt_u32_f32_e32 v3, v3
	v_cvt_u32_f32_e32 v2, v2
	v_mul_lo_u32 v8, s0, v3
	v_mul_hi_u32 v9, s0, v2
	v_mul_lo_u32 v11, s1, v2
	v_mul_lo_u32 v10, s0, v2
	v_add_u32_e32 v8, v9, v8
	v_add_u32_e32 v8, v8, v11
	v_mul_hi_u32 v9, v2, v10
	v_mul_lo_u32 v11, v2, v8
	v_mul_hi_u32 v13, v2, v8
	v_mul_hi_u32 v12, v3, v10
	v_mul_lo_u32 v10, v3, v10
	v_mul_hi_u32 v14, v3, v8
	v_add_co_u32_e32 v9, vcc, v9, v11
	v_addc_co_u32_e32 v11, vcc, 0, v13, vcc
	v_mul_lo_u32 v8, v3, v8
	v_add_co_u32_e32 v9, vcc, v9, v10
	v_addc_co_u32_e32 v9, vcc, v11, v12, vcc
	v_addc_co_u32_e32 v10, vcc, 0, v14, vcc
	v_add_co_u32_e32 v8, vcc, v9, v8
	v_addc_co_u32_e32 v9, vcc, 0, v10, vcc
	v_add_co_u32_e32 v2, vcc, v2, v8
	v_addc_co_u32_e32 v3, vcc, v3, v9, vcc
	v_mul_lo_u32 v8, s0, v3
	v_mul_hi_u32 v9, s0, v2
	v_mul_lo_u32 v10, s1, v2
	v_mul_lo_u32 v11, s0, v2
	v_add_u32_e32 v8, v9, v8
	v_add_u32_e32 v8, v8, v10
	v_mul_lo_u32 v12, v2, v8
	v_mul_hi_u32 v13, v2, v11
	v_mul_hi_u32 v14, v2, v8
	;; [unrolled: 1-line block ×3, first 2 shown]
	v_mul_lo_u32 v11, v3, v11
	v_mul_hi_u32 v9, v3, v8
	v_add_co_u32_e32 v12, vcc, v13, v12
	v_addc_co_u32_e32 v13, vcc, 0, v14, vcc
	v_mul_lo_u32 v8, v3, v8
	v_add_co_u32_e32 v11, vcc, v12, v11
	v_addc_co_u32_e32 v10, vcc, v13, v10, vcc
	v_addc_co_u32_e32 v9, vcc, 0, v9, vcc
	v_add_co_u32_e32 v8, vcc, v10, v8
	v_addc_co_u32_e32 v9, vcc, 0, v9, vcc
	v_add_co_u32_e32 v8, vcc, v2, v8
	v_addc_co_u32_e32 v9, vcc, v3, v9, vcc
	v_mad_u64_u32 v[2:3], s[0:1], v6, v9, 0
	v_mul_hi_u32 v10, v6, v8
	v_add_co_u32_e32 v10, vcc, v10, v2
	v_addc_co_u32_e32 v11, vcc, 0, v3, vcc
	v_mad_u64_u32 v[2:3], s[0:1], v7, v8, 0
	v_mad_u64_u32 v[8:9], s[0:1], v7, v9, 0
	v_add_co_u32_e32 v2, vcc, v10, v2
	v_addc_co_u32_e32 v2, vcc, v11, v3, vcc
	v_addc_co_u32_e32 v3, vcc, 0, v9, vcc
	v_add_co_u32_e32 v8, vcc, v2, v8
	v_addc_co_u32_e32 v9, vcc, 0, v3, vcc
	v_mul_lo_u32 v10, s29, v8
	v_mul_lo_u32 v11, s28, v9
	v_mad_u64_u32 v[2:3], s[0:1], s28, v8, 0
	v_add3_u32 v3, v3, v11, v10
	v_sub_u32_e32 v10, v7, v3
	v_mov_b32_e32 v11, s29
	v_sub_co_u32_e32 v2, vcc, v6, v2
	v_subb_co_u32_e64 v10, s[0:1], v10, v11, vcc
	v_subrev_co_u32_e64 v11, s[0:1], s28, v2
	v_subbrev_co_u32_e64 v10, s[0:1], 0, v10, s[0:1]
	v_cmp_le_u32_e64 s[0:1], s29, v10
	v_cndmask_b32_e64 v12, 0, -1, s[0:1]
	v_cmp_le_u32_e64 s[0:1], s28, v11
	v_cndmask_b32_e64 v11, 0, -1, s[0:1]
	v_cmp_eq_u32_e64 s[0:1], s29, v10
	v_cndmask_b32_e64 v10, v12, v11, s[0:1]
	v_add_co_u32_e64 v11, s[0:1], 2, v8
	v_addc_co_u32_e64 v12, s[0:1], 0, v9, s[0:1]
	v_add_co_u32_e64 v13, s[0:1], 1, v8
	v_addc_co_u32_e64 v14, s[0:1], 0, v9, s[0:1]
	v_subb_co_u32_e32 v3, vcc, v7, v3, vcc
	v_cmp_ne_u32_e64 s[0:1], 0, v10
	v_cmp_le_u32_e32 vcc, s29, v3
	v_cndmask_b32_e64 v10, v14, v12, s[0:1]
	v_cndmask_b32_e64 v12, 0, -1, vcc
	v_cmp_le_u32_e32 vcc, s28, v2
	v_cndmask_b32_e64 v2, 0, -1, vcc
	v_cmp_eq_u32_e32 vcc, s29, v3
	v_cndmask_b32_e32 v2, v12, v2, vcc
	v_cmp_ne_u32_e32 vcc, 0, v2
	v_cndmask_b32_e64 v2, v13, v11, s[0:1]
	v_cndmask_b32_e32 v75, v9, v10, vcc
	v_cndmask_b32_e32 v74, v8, v2, vcc
.LBB0_4:                                ;   in Loop: Header=BB0_2 Depth=1
	s_andn2_saveexec_b64 s[0:1], s[30:31]
	s_cbranch_execz .LBB0_6
; %bb.5:                                ;   in Loop: Header=BB0_2 Depth=1
	v_cvt_f32_u32_e32 v2, s28
	s_sub_i32 s30, 0, s28
	v_mov_b32_e32 v75, v1
	v_rcp_iflag_f32_e32 v2, v2
	v_mul_f32_e32 v2, 0x4f7ffffe, v2
	v_cvt_u32_f32_e32 v2, v2
	v_mul_lo_u32 v3, s30, v2
	v_mul_hi_u32 v3, v2, v3
	v_add_u32_e32 v2, v2, v3
	v_mul_hi_u32 v2, v6, v2
	v_mul_lo_u32 v3, v2, s28
	v_add_u32_e32 v8, 1, v2
	v_sub_u32_e32 v3, v6, v3
	v_subrev_u32_e32 v9, s28, v3
	v_cmp_le_u32_e32 vcc, s28, v3
	v_cndmask_b32_e32 v3, v3, v9, vcc
	v_cndmask_b32_e32 v2, v2, v8, vcc
	v_add_u32_e32 v8, 1, v2
	v_cmp_le_u32_e32 vcc, s28, v3
	v_cndmask_b32_e32 v74, v2, v8, vcc
.LBB0_6:                                ;   in Loop: Header=BB0_2 Depth=1
	s_or_b64 exec, exec, s[0:1]
	v_mul_lo_u32 v8, v75, s28
	v_mul_lo_u32 v9, v74, s29
	v_mad_u64_u32 v[2:3], s[0:1], v74, s28, 0
	s_load_dwordx2 s[0:1], s[22:23], 0x0
	s_load_dwordx2 s[28:29], s[6:7], 0x0
	v_add3_u32 v3, v3, v9, v8
	v_sub_co_u32_e32 v2, vcc, v6, v2
	v_subb_co_u32_e32 v3, vcc, v7, v3, vcc
	s_waitcnt lgkmcnt(0)
	v_mul_lo_u32 v6, s0, v3
	v_mul_lo_u32 v7, s1, v2
	v_mad_u64_u32 v[4:5], s[0:1], s0, v2, v[4:5]
	v_mul_lo_u32 v3, s28, v3
	v_mul_lo_u32 v8, s29, v2
	v_mad_u64_u32 v[72:73], s[0:1], s28, v2, v[72:73]
	s_add_u32 s26, s26, 1
	s_addc_u32 s27, s27, 0
	s_add_u32 s6, s6, 8
	v_add3_u32 v73, v8, v73, v3
	s_addc_u32 s7, s7, 0
	v_mov_b32_e32 v2, s10
	s_add_u32 s22, s22, 8
	v_mov_b32_e32 v3, s11
	s_addc_u32 s23, s23, 0
	v_cmp_ge_u64_e32 vcc, s[26:27], v[2:3]
	s_add_u32 s24, s24, 8
	v_add3_u32 v5, v7, v5, v6
	s_addc_u32 s25, s25, 0
	s_cbranch_vccnz .LBB0_9
; %bb.7:                                ;   in Loop: Header=BB0_2 Depth=1
	v_mov_b32_e32 v6, v74
	v_mov_b32_e32 v7, v75
	s_branch .LBB0_2
.LBB0_8:
	v_mov_b32_e32 v73, v5
	v_mov_b32_e32 v75, v7
	;; [unrolled: 1-line block ×4, first 2 shown]
.LBB0_9:
	s_load_dwordx2 s[0:1], s[4:5], 0x28
	s_lshl_b64 s[10:11], s[10:11], 3
	s_add_u32 s4, s18, s10
	s_addc_u32 s5, s19, s11
                                        ; implicit-def: $vgpr100
                                        ; implicit-def: $vgpr102
                                        ; implicit-def: $vgpr101
                                        ; implicit-def: $vgpr60
                                        ; implicit-def: $vgpr61
	s_waitcnt lgkmcnt(0)
	v_cmp_gt_u64_e32 vcc, s[0:1], v[74:75]
	v_cmp_le_u64_e64 s[0:1], s[0:1], v[74:75]
	s_and_saveexec_b64 s[6:7], s[0:1]
	s_xor_b64 s[0:1], exec, s[6:7]
; %bb.10:
	s_mov_b32 s6, 0x4104105
	v_mul_hi_u32 v1, v0, s6
                                        ; implicit-def: $vgpr4_vgpr5
	v_mul_u32_u24_e32 v1, 63, v1
	v_sub_u32_e32 v100, v0, v1
	v_add_u32_e32 v102, 63, v100
	v_add_u32_e32 v101, 0x7e, v100
	;; [unrolled: 1-line block ×4, first 2 shown]
                                        ; implicit-def: $vgpr0
; %bb.11:
	s_or_saveexec_b64 s[6:7], s[0:1]
                                        ; implicit-def: $vgpr2_vgpr3
                                        ; implicit-def: $vgpr10_vgpr11
                                        ; implicit-def: $vgpr14_vgpr15
                                        ; implicit-def: $vgpr6_vgpr7
                                        ; implicit-def: $vgpr18_vgpr19
                                        ; implicit-def: $vgpr22_vgpr23
                                        ; implicit-def: $vgpr26_vgpr27
                                        ; implicit-def: $vgpr30_vgpr31
                                        ; implicit-def: $vgpr34_vgpr35
                                        ; implicit-def: $vgpr38_vgpr39
                                        ; implicit-def: $vgpr42_vgpr43
                                        ; implicit-def: $vgpr46_vgpr47
                                        ; implicit-def: $vgpr54_vgpr55
                                        ; implicit-def: $vgpr58_vgpr59
                                        ; implicit-def: $vgpr50_vgpr51
	s_xor_b64 exec, exec, s[6:7]
	s_cbranch_execz .LBB0_13
; %bb.12:
	s_add_u32 s0, s16, s10
	s_mov_b32 s10, 0x4104105
	s_addc_u32 s1, s17, s11
	v_mul_hi_u32 v1, v0, s10
	s_load_dwordx2 s[0:1], s[0:1], 0x0
	v_mul_u32_u24_e32 v1, 63, v1
	v_sub_u32_e32 v100, v0, v1
	s_waitcnt lgkmcnt(0)
	v_mul_lo_u32 v8, s1, v74
	v_mad_u64_u32 v[0:1], s[10:11], s20, v100, 0
	v_mul_lo_u32 v9, s0, v75
	v_mad_u64_u32 v[2:3], s[0:1], s0, v74, 0
	v_add_u32_e32 v102, 63, v100
	v_add_u32_e32 v101, 0x7e, v100
	v_mad_u64_u32 v[6:7], s[0:1], s21, v100, v[1:2]
	v_add3_u32 v3, v3, v9, v8
	v_lshlrev_b64 v[2:3], 4, v[2:3]
	v_mov_b32_e32 v1, v6
	v_mov_b32_e32 v6, s13
	v_add_co_u32_e64 v7, s[0:1], s12, v2
	v_add_u32_e32 v8, 0x13b, v100
	v_addc_co_u32_e64 v6, s[0:1], v6, v3, s[0:1]
	v_lshlrev_b64 v[2:3], 4, v[4:5]
	v_mad_u64_u32 v[4:5], s[0:1], s20, v8, 0
	v_add_co_u32_e64 v12, s[0:1], v7, v2
	v_mov_b32_e32 v2, v5
	v_addc_co_u32_e64 v13, s[0:1], v6, v3, s[0:1]
	v_mad_u64_u32 v[2:3], s[0:1], s21, v8, v[2:3]
	v_add_u32_e32 v8, 0x276, v100
	v_mad_u64_u32 v[6:7], s[0:1], s20, v8, 0
	v_lshlrev_b64 v[0:1], 4, v[0:1]
	v_mov_b32_e32 v5, v2
	v_add_co_u32_e64 v0, s[0:1], v12, v0
	v_lshlrev_b64 v[2:3], 4, v[4:5]
	v_mov_b32_e32 v4, v7
	v_addc_co_u32_e64 v1, s[0:1], v13, v1, s[0:1]
	v_mad_u64_u32 v[4:5], s[0:1], s21, v8, v[4:5]
	v_mad_u64_u32 v[8:9], s[0:1], s20, v102, 0
	v_mov_b32_e32 v7, v4
	v_add_co_u32_e64 v2, s[0:1], v12, v2
	v_lshlrev_b64 v[4:5], 4, v[6:7]
	v_mov_b32_e32 v6, v9
	v_addc_co_u32_e64 v3, s[0:1], v13, v3, s[0:1]
	v_mad_u64_u32 v[6:7], s[0:1], s21, v102, v[6:7]
	v_add_u32_e32 v7, 0x17a, v100
	v_mad_u64_u32 v[10:11], s[0:1], s20, v7, 0
	v_add_co_u32_e64 v62, s[0:1], v12, v4
	v_mov_b32_e32 v9, v6
	v_mov_b32_e32 v6, v11
	v_addc_co_u32_e64 v63, s[0:1], v13, v5, s[0:1]
	v_lshlrev_b64 v[4:5], 4, v[8:9]
	v_mad_u64_u32 v[6:7], s[0:1], s21, v7, v[6:7]
	v_add_u32_e32 v9, 0x2b5, v100
	v_mad_u64_u32 v[7:8], s[0:1], s20, v9, 0
	v_add_co_u32_e64 v64, s[0:1], v12, v4
	v_mov_b32_e32 v11, v6
	v_mov_b32_e32 v6, v8
	v_addc_co_u32_e64 v65, s[0:1], v13, v5, s[0:1]
	v_mad_u64_u32 v[8:9], s[0:1], s21, v9, v[6:7]
	v_lshlrev_b64 v[4:5], 4, v[10:11]
	v_mad_u64_u32 v[9:10], s[0:1], s20, v101, 0
	v_add_co_u32_e64 v66, s[0:1], v12, v4
	v_mov_b32_e32 v6, v10
	v_addc_co_u32_e64 v67, s[0:1], v13, v5, s[0:1]
	v_lshlrev_b64 v[4:5], 4, v[7:8]
	v_mad_u64_u32 v[6:7], s[0:1], s21, v101, v[6:7]
	v_add_u32_e32 v11, 0x1b9, v100
	v_mad_u64_u32 v[7:8], s[0:1], s20, v11, 0
	v_add_co_u32_e64 v68, s[0:1], v12, v4
	v_mov_b32_e32 v10, v6
	v_mov_b32_e32 v6, v8
	v_addc_co_u32_e64 v69, s[0:1], v13, v5, s[0:1]
	v_lshlrev_b64 v[4:5], 4, v[9:10]
	v_mad_u64_u32 v[8:9], s[0:1], s21, v11, v[6:7]
	v_add_u32_e32 v11, 0x2f4, v100
	v_mad_u64_u32 v[9:10], s[0:1], s20, v11, 0
	v_add_co_u32_e64 v70, s[0:1], v12, v4
	v_mov_b32_e32 v6, v10
	v_addc_co_u32_e64 v71, s[0:1], v13, v5, s[0:1]
	v_lshlrev_b64 v[4:5], 4, v[7:8]
	v_mad_u64_u32 v[6:7], s[0:1], s21, v11, v[6:7]
	v_add_u32_e32 v60, 0xbd, v100
	v_mad_u64_u32 v[7:8], s[0:1], s20, v60, 0
	v_add_co_u32_e64 v76, s[0:1], v12, v4
	v_mov_b32_e32 v10, v6
	v_mov_b32_e32 v6, v8
	v_addc_co_u32_e64 v77, s[0:1], v13, v5, s[0:1]
	v_lshlrev_b64 v[4:5], 4, v[9:10]
	v_mad_u64_u32 v[8:9], s[0:1], s21, v60, v[6:7]
	v_add_u32_e32 v11, 0x1f8, v100
	;; [unrolled: 15-line block ×4, first 2 shown]
	v_mad_u64_u32 v[9:10], s[0:1], s20, v11, 0
	v_add_co_u32_e64 v86, s[0:1], v12, v4
	v_mov_b32_e32 v6, v10
	v_addc_co_u32_e64 v87, s[0:1], v13, v5, s[0:1]
	v_lshlrev_b64 v[4:5], 4, v[7:8]
	v_mad_u64_u32 v[6:7], s[0:1], s21, v11, v[6:7]
	v_add_co_u32_e64 v88, s[0:1], v12, v4
	v_mov_b32_e32 v10, v6
	global_load_dwordx4 v[48:51], v[0:1], off
	global_load_dwordx4 v[56:59], v[2:3], off
	v_lshlrev_b64 v[0:1], 4, v[9:10]
	v_addc_co_u32_e64 v89, s[0:1], v13, v5, s[0:1]
	v_add_co_u32_e64 v90, s[0:1], v12, v0
	v_addc_co_u32_e64 v91, s[0:1], v13, v1, s[0:1]
	global_load_dwordx4 v[52:55], v[62:63], off
	global_load_dwordx4 v[44:47], v[64:65], off
	;; [unrolled: 1-line block ×13, first 2 shown]
.LBB0_13:
	s_or_b64 exec, exec, s[6:7]
	s_waitcnt vmcnt(12)
	v_add_f64 v[62:63], v[52:53], v[56:57]
	v_add_f64 v[64:65], v[56:57], v[48:49]
	v_add_f64 v[66:67], v[58:59], -v[54:55]
	v_add_f64 v[68:69], v[54:55], v[58:59]
	s_mov_b32 s0, 0xe8584caa
	v_add_f64 v[58:59], v[58:59], v[50:51]
	s_mov_b32 s1, 0xbfebb67a
	s_mov_b32 s7, 0x3febb67a
	v_fma_f64 v[48:49], v[62:63], -0.5, v[48:49]
	s_waitcnt vmcnt(9)
	v_add_f64 v[62:63], v[36:37], v[40:41]
	s_mov_b32 s6, s0
	v_add_f64 v[56:57], v[56:57], -v[52:53]
	v_add_f64 v[52:53], v[52:53], v[64:65]
	v_fma_f64 v[50:51], v[68:69], -0.5, v[50:51]
	v_add_f64 v[54:55], v[54:55], v[58:59]
	v_add_f64 v[58:59], v[38:39], v[42:43]
	v_fma_f64 v[64:65], v[66:67], s[0:1], v[48:49]
	v_fma_f64 v[48:49], v[66:67], s[6:7], v[48:49]
	v_add_f64 v[66:67], v[40:41], v[44:45]
	v_fma_f64 v[44:45], v[62:63], -0.5, v[44:45]
	v_add_f64 v[62:63], v[42:43], -v[38:39]
	v_add_f64 v[42:43], v[42:43], v[46:47]
	v_fma_f64 v[68:69], v[56:57], s[6:7], v[50:51]
	v_fma_f64 v[50:51], v[56:57], s[0:1], v[50:51]
	v_fma_f64 v[46:47], v[58:59], -0.5, v[46:47]
	s_waitcnt vmcnt(7)
	v_add_f64 v[58:59], v[28:29], v[32:33]
	v_add_f64 v[56:57], v[36:37], v[66:67]
	s_waitcnt vmcnt(6)
	v_add_f64 v[66:67], v[24:25], v[28:29]
	v_add_f64 v[36:37], v[40:41], -v[36:37]
	v_add_f64 v[38:39], v[38:39], v[42:43]
	v_add_f64 v[42:43], v[26:27], v[30:31]
	s_waitcnt vmcnt(3)
	v_add_f64 v[70:71], v[4:5], v[16:17]
	v_fma_f64 v[40:41], v[62:63], s[0:1], v[44:45]
	v_fma_f64 v[44:45], v[62:63], s[6:7], v[44:45]
	v_add_f64 v[62:63], v[30:31], -v[26:27]
	v_fma_f64 v[32:33], v[66:67], -0.5, v[32:33]
	v_add_f64 v[30:31], v[30:31], v[34:35]
	v_fma_f64 v[66:67], v[36:37], s[6:7], v[46:47]
	v_fma_f64 v[36:37], v[36:37], s[0:1], v[46:47]
	v_fma_f64 v[34:35], v[42:43], -0.5, v[34:35]
	v_add_f64 v[28:29], v[28:29], -v[24:25]
	v_add_f64 v[24:25], v[24:25], v[58:59]
	v_add_f64 v[46:47], v[16:17], v[20:21]
	v_fma_f64 v[20:21], v[70:71], -0.5, v[20:21]
	v_add_f64 v[58:59], v[18:19], -v[6:7]
	v_fma_f64 v[42:43], v[62:63], s[0:1], v[32:33]
	v_fma_f64 v[32:33], v[62:63], s[6:7], v[32:33]
	v_add_f64 v[62:63], v[26:27], v[30:31]
	v_add_f64 v[26:27], v[6:7], v[18:19]
	s_waitcnt vmcnt(0)
	v_add_f64 v[30:31], v[0:1], v[8:9]
	v_fma_f64 v[70:71], v[28:29], s[6:7], v[34:35]
	v_fma_f64 v[34:35], v[28:29], s[0:1], v[34:35]
	v_add_f64 v[28:29], v[4:5], v[46:47]
	v_fma_f64 v[46:47], v[58:59], s[0:1], v[20:21]
	v_fma_f64 v[20:21], v[58:59], s[6:7], v[20:21]
	v_add_f64 v[58:59], v[2:3], v[10:11]
	v_add_f64 v[18:19], v[18:19], v[22:23]
	v_fma_f64 v[22:23], v[26:27], -0.5, v[22:23]
	v_add_f64 v[4:5], v[16:17], -v[4:5]
	v_add_f64 v[16:17], v[8:9], v[12:13]
	v_fma_f64 v[12:13], v[30:31], -0.5, v[12:13]
	v_add_f64 v[26:27], v[10:11], -v[2:3]
	;; [unrolled: 3-line block ×3, first 2 shown]
	v_add_f64 v[58:59], v[6:7], v[18:19]
	v_fma_f64 v[76:77], v[4:5], s[6:7], v[22:23]
	v_fma_f64 v[78:79], v[4:5], s[0:1], v[22:23]
	v_add_f64 v[0:1], v[0:1], v[16:17]
	v_fma_f64 v[4:5], v[26:27], s[0:1], v[12:13]
	v_fma_f64 v[6:7], v[26:27], s[6:7], v[12:13]
	;; [unrolled: 3-line block ×3, first 2 shown]
	v_mad_u32_u24 v9, v100, 24, 0
	v_mad_i32_i24 v103, v102, 24, 0
	v_mad_i32_i24 v2, v101, 24, 0
	s_load_dwordx2 s[4:5], s[4:5], 0x0
	ds_write2_b64 v9, v[52:53], v[64:65] offset1:1
	ds_write_b64 v9, v[48:49] offset:16
	ds_write2_b64 v103, v[56:57], v[40:41] offset1:1
	ds_write_b64 v103, v[44:45] offset:16
	;; [unrolled: 2-line block ×3, first 2 shown]
	v_mad_i32_i24 v11, v60, 24, 0
	v_mad_i32_i24 v32, v61, 24, 0
	ds_write2_b64 v11, v[28:29], v[46:47] offset1:1
	ds_write_b64 v11, v[20:21] offset:16
	ds_write2_b64 v32, v[0:1], v[4:5] offset1:1
	ds_write_b64 v32, v[6:7] offset:16
	v_lshlrev_b32_e32 v0, 4, v100
	v_sub_u32_e32 v104, v9, v0
	v_lshlrev_b32_e32 v10, 4, v61
	v_add_u32_e32 v105, 0x800, v104
	v_add_u32_e32 v106, 0x1000, v104
	v_lshlrev_b32_e32 v3, 4, v102
	v_lshlrev_b32_e32 v5, 4, v101
	v_lshlrev_b32_e32 v0, 4, v60
	v_add_u32_e32 v4, 0x1800, v104
	v_sub_u32_e32 v10, v32, v10
	s_movk_i32 s10, 0xab
	s_waitcnt lgkmcnt(0)
	; wave barrier
	s_waitcnt lgkmcnt(0)
	ds_read2_b64 v[12:15], v105 offset0:59 offset1:122
	ds_read2_b64 v[16:19], v106 offset0:55 offset1:118
	v_sub_u32_e32 v6, v103, v3
	ds_read2_b64 v[20:23], v106 offset0:181 offset1:244
	v_sub_u32_e32 v7, v2, v5
	;; [unrolled: 2-line block ×3, first 2 shown]
	ds_read_b64 v[0:1], v104
	ds_read_b64 v[92:93], v6
	;; [unrolled: 1-line block ×4, first 2 shown]
	ds_read2_b64 v[28:31], v4 offset0:51 offset1:114
	ds_read_b64 v[98:99], v10
	s_waitcnt lgkmcnt(0)
	; wave barrier
	s_waitcnt lgkmcnt(0)
	ds_write2_b64 v9, v[54:55], v[68:69] offset1:1
	ds_write_b64 v9, v[50:51] offset:16
	ds_write2_b64 v103, v[38:39], v[66:67] offset1:1
	ds_write_b64 v103, v[36:37] offset:16
	;; [unrolled: 2-line block ×5, first 2 shown]
	v_mul_lo_u16_sdwa v9, v100, s10 dst_sel:DWORD dst_unused:UNUSED_PAD src0_sel:BYTE_0 src1_sel:DWORD
	v_lshrrev_b16_e32 v9, 9, v9
	v_mul_lo_u16_sdwa v36, v102, s10 dst_sel:DWORD dst_unused:UNUSED_PAD src0_sel:BYTE_0 src1_sel:DWORD
	v_mul_lo_u16_e32 v11, 3, v9
	v_lshrrev_b16_e32 v112, 9, v36
	v_sub_u16_e32 v111, v100, v11
	v_mov_b32_e32 v11, 5
	v_mul_lo_u16_e32 v36, 3, v112
	v_lshlrev_b32_sdwa v62, v11, v111 dst_sel:DWORD dst_unused:UNUSED_PAD src0_sel:DWORD src1_sel:BYTE_0
	v_sub_u16_e32 v113, v102, v36
	s_waitcnt lgkmcnt(0)
	; wave barrier
	s_waitcnt lgkmcnt(0)
	global_load_dwordx4 v[32:35], v62, s[8:9]
	v_lshlrev_b32_sdwa v44, v11, v113 dst_sel:DWORD dst_unused:UNUSED_PAD src0_sel:DWORD src1_sel:BYTE_0
	global_load_dwordx4 v[36:39], v44, s[8:9]
	global_load_dwordx4 v[40:43], v44, s[8:9] offset:16
	v_mul_lo_u16_sdwa v44, v101, s10 dst_sel:DWORD dst_unused:UNUSED_PAD src0_sel:BYTE_0 src1_sel:DWORD
	v_lshrrev_b16_e32 v114, 9, v44
	v_mul_lo_u16_e32 v44, 3, v114
	v_sub_u16_e32 v115, v101, v44
	v_lshlrev_b32_sdwa v52, v11, v115 dst_sel:DWORD dst_unused:UNUSED_PAD src0_sel:DWORD src1_sel:BYTE_0
	global_load_dwordx4 v[44:47], v52, s[8:9]
	global_load_dwordx4 v[48:51], v52, s[8:9] offset:16
	v_mul_lo_u16_sdwa v52, v60, s10 dst_sel:DWORD dst_unused:UNUSED_PAD src0_sel:BYTE_0 src1_sel:DWORD
	v_lshrrev_b16_e32 v116, 9, v52
	v_mul_lo_u16_e32 v52, 3, v116
	v_sub_u16_e32 v117, v60, v52
	v_lshlrev_b32_sdwa v70, v11, v117 dst_sel:DWORD dst_unused:UNUSED_PAD src0_sel:DWORD src1_sel:BYTE_0
	global_load_dwordx4 v[52:55], v70, s[8:9]
	global_load_dwordx4 v[56:59], v62, s[8:9] offset:16
	s_mov_b32 s10, 0xaaab
	v_mul_u32_u24_sdwa v62, v61, s10 dst_sel:DWORD dst_unused:UNUSED_PAD src0_sel:WORD_0 src1_sel:DWORD
	v_lshrrev_b32_e32 v118, 17, v62
	v_mul_lo_u16_e32 v62, 3, v118
	v_sub_u16_e32 v119, v61, v62
	v_lshlrev_b32_e32 v71, 5, v119
	global_load_dwordx4 v[62:65], v71, s[8:9]
	global_load_dwordx4 v[66:69], v70, s[8:9] offset:16
	global_load_dwordx4 v[76:79], v71, s[8:9] offset:16
	ds_read2_b64 v[80:83], v105 offset0:59 offset1:122
	ds_read2_b64 v[84:87], v106 offset0:181 offset1:244
	ds_read2_b64 v[88:91], v105 offset0:185 offset1:248
	s_mov_b32 s10, 0xe38f
	s_mov_b32 s17, 0x3fee6f0e
	;; [unrolled: 1-line block ×5, first 2 shown]
	s_waitcnt vmcnt(9) lgkmcnt(2)
	v_mul_f64 v[70:71], v[80:81], v[34:35]
	v_mul_f64 v[34:35], v[12:13], v[34:35]
	s_waitcnt vmcnt(8)
	v_mul_f64 v[107:108], v[82:83], v[38:39]
	v_mul_f64 v[38:39], v[14:15], v[38:39]
	s_waitcnt vmcnt(7) lgkmcnt(1)
	v_mul_f64 v[109:110], v[84:85], v[42:43]
	v_fma_f64 v[70:71], v[12:13], v[32:33], v[70:71]
	v_fma_f64 v[32:33], v[80:81], v[32:33], -v[34:35]
	v_fma_f64 v[34:35], v[14:15], v[36:37], v[107:108]
	v_mul_f64 v[12:13], v[20:21], v[42:43]
	s_waitcnt vmcnt(6) lgkmcnt(0)
	v_mul_f64 v[14:15], v[88:89], v[46:47]
	v_fma_f64 v[36:37], v[82:83], v[36:37], -v[38:39]
	v_fma_f64 v[38:39], v[20:21], v[40:41], v[109:110]
	v_mul_f64 v[20:21], v[24:25], v[46:47]
	s_waitcnt vmcnt(5)
	v_mul_f64 v[42:43], v[86:87], v[50:51]
	v_mul_f64 v[46:47], v[22:23], v[50:51]
	s_waitcnt vmcnt(4)
	v_mul_f64 v[50:51], v[90:91], v[54:55]
	v_fma_f64 v[40:41], v[84:85], v[40:41], -v[12:13]
	v_fma_f64 v[80:81], v[24:25], v[44:45], v[14:15]
	ds_read2_b64 v[12:15], v106 offset0:55 offset1:118
	v_mul_f64 v[24:25], v[26:27], v[54:55]
	s_waitcnt vmcnt(2)
	v_mul_f64 v[54:55], v[16:17], v[64:65]
	v_fma_f64 v[42:43], v[22:23], v[48:49], v[42:43]
	v_fma_f64 v[46:47], v[86:87], v[48:49], -v[46:47]
	v_fma_f64 v[48:49], v[26:27], v[52:53], v[50:51]
	s_waitcnt lgkmcnt(0)
	v_mul_f64 v[26:27], v[14:15], v[58:59]
	v_mul_f64 v[50:51], v[18:19], v[58:59]
	v_fma_f64 v[44:45], v[88:89], v[44:45], -v[20:21]
	v_fma_f64 v[52:53], v[90:91], v[52:53], -v[24:25]
	v_mul_f64 v[24:25], v[12:13], v[64:65]
	s_waitcnt vmcnt(1)
	v_mul_f64 v[64:65], v[28:29], v[68:69]
	v_fma_f64 v[54:55], v[12:13], v[62:63], -v[54:55]
	ds_read2_b64 v[20:23], v4 offset0:51 offset1:114
	v_fma_f64 v[18:19], v[18:19], v[56:57], v[26:27]
	v_fma_f64 v[14:15], v[14:15], v[56:57], -v[50:51]
	s_waitcnt vmcnt(0)
	v_mul_f64 v[50:51], v[30:31], v[78:79]
	v_mul_u32_u24_e32 v82, 0x48, v116
	s_waitcnt lgkmcnt(0)
	v_mul_f64 v[58:59], v[20:21], v[68:69]
	v_fma_f64 v[56:57], v[16:17], v[62:63], v[24:25]
	v_fma_f64 v[62:63], v[20:21], v[66:67], -v[64:65]
	v_mul_u32_u24_e32 v20, 0x48, v9
	v_add_f64 v[12:13], v[70:71], v[18:19]
	v_mov_b32_e32 v9, 3
	v_lshlrev_b32_sdwa v21, v9, v111 dst_sel:DWORD dst_unused:UNUSED_PAD src0_sel:DWORD src1_sel:BYTE_0
	v_mul_f64 v[26:27], v[22:23], v[78:79]
	v_add_f64 v[16:17], v[0:1], v[70:71]
	v_add3_u32 v107, 0, v20, v21
	v_add_f64 v[20:21], v[34:35], v[38:39]
	v_fma_f64 v[58:59], v[28:29], v[66:67], v[58:59]
	v_fma_f64 v[0:1], v[12:13], -0.5, v[0:1]
	v_add_f64 v[12:13], v[32:33], -v[14:15]
	v_add_f64 v[28:29], v[80:81], v[42:43]
	v_fma_f64 v[64:65], v[30:31], v[76:77], v[26:27]
	v_add_f64 v[16:17], v[16:17], v[18:19]
	v_add_f64 v[26:27], v[36:37], -v[40:41]
	v_fma_f64 v[50:51], v[22:23], v[76:77], -v[50:51]
	ds_read_b64 v[22:23], v104
	ds_read_b64 v[66:67], v6
	;; [unrolled: 1-line block ×5, first 2 shown]
	s_waitcnt lgkmcnt(0)
	v_fma_f64 v[24:25], v[12:13], s[0:1], v[0:1]
	v_fma_f64 v[0:1], v[12:13], s[6:7], v[0:1]
	v_fma_f64 v[12:13], v[20:21], -0.5, v[92:93]
	v_add_f64 v[20:21], v[92:93], v[34:35]
	; wave barrier
	ds_write2_b64 v107, v[16:17], v[24:25] offset1:3
	ds_write_b64 v107, v[0:1] offset:48
	v_add_f64 v[24:25], v[94:95], v[80:81]
	v_fma_f64 v[16:17], v[26:27], s[0:1], v[12:13]
	v_add_f64 v[0:1], v[20:21], v[38:39]
	v_fma_f64 v[12:13], v[26:27], s[6:7], v[12:13]
	v_fma_f64 v[20:21], v[28:29], -0.5, v[94:95]
	v_add_f64 v[26:27], v[44:45], -v[46:47]
	v_mul_u32_u24_e32 v30, 0x48, v112
	v_lshlrev_b32_sdwa v31, v9, v113 dst_sel:DWORD dst_unused:UNUSED_PAD src0_sel:DWORD src1_sel:BYTE_0
	v_add_f64 v[28:29], v[48:49], v[58:59]
	v_add3_u32 v108, 0, v30, v31
	ds_write2_b64 v108, v[0:1], v[16:17] offset1:3
	ds_write_b64 v108, v[12:13] offset:48
	v_add_f64 v[0:1], v[24:25], v[42:43]
	v_mul_u32_u24_e32 v30, 0x48, v114
	v_fma_f64 v[12:13], v[26:27], s[0:1], v[20:21]
	v_fma_f64 v[16:17], v[26:27], s[6:7], v[20:21]
	v_lshlrev_b32_sdwa v31, v9, v115 dst_sel:DWORD dst_unused:UNUSED_PAD src0_sel:DWORD src1_sel:BYTE_0
	v_fma_f64 v[20:21], v[28:29], -0.5, v[96:97]
	v_add_f64 v[24:25], v[96:97], v[48:49]
	v_add3_u32 v96, 0, v30, v31
	ds_write2_b64 v96, v[0:1], v[12:13] offset1:3
	ds_write_b64 v96, v[16:17] offset:48
	v_add_f64 v[16:17], v[22:23], v[32:33]
	v_add_f64 v[32:33], v[32:33], v[14:15]
	;; [unrolled: 1-line block ×4, first 2 shown]
	v_add_f64 v[70:71], v[70:71], -v[18:19]
	v_add_f64 v[34:35], v[34:35], -v[38:39]
	;; [unrolled: 1-line block ×3, first 2 shown]
	v_add_f64 v[28:29], v[56:57], v[64:65]
	v_add_f64 v[38:39], v[44:45], v[46:47]
	v_fma_f64 v[32:33], v[32:33], -0.5, v[22:23]
	v_fma_f64 v[66:67], v[92:93], -0.5, v[66:67]
	v_add_f64 v[36:37], v[36:37], v[40:41]
	v_add_f64 v[40:41], v[52:53], v[62:63]
	;; [unrolled: 1-line block ×3, first 2 shown]
	v_fma_f64 v[12:13], v[26:27], s[0:1], v[20:21]
	v_fma_f64 v[24:25], v[28:29], -0.5, v[98:99]
	v_add_f64 v[28:29], v[54:55], -v[50:51]
	v_fma_f64 v[94:95], v[70:71], s[6:7], v[32:33]
	v_fma_f64 v[32:33], v[70:71], s[0:1], v[32:33]
	;; [unrolled: 1-line block ×4, first 2 shown]
	v_add_f64 v[66:67], v[54:55], v[50:51]
	v_add_f64 v[30:31], v[98:99], v[56:57]
	;; [unrolled: 1-line block ×3, first 2 shown]
	v_fma_f64 v[38:39], v[38:39], -0.5, v[68:69]
	v_add_f64 v[42:43], v[80:81], -v[42:43]
	v_add_f64 v[52:53], v[76:77], v[52:53]
	v_fma_f64 v[40:41], v[40:41], -0.5, v[76:77]
	v_add_f64 v[48:49], v[48:49], -v[58:59]
	v_lshlrev_b32_sdwa v83, v9, v117 dst_sel:DWORD dst_unused:UNUSED_PAD src0_sel:DWORD src1_sel:BYTE_0
	v_add3_u32 v97, 0, v82, v83
	v_add_f64 v[54:55], v[78:79], v[54:55]
	v_fma_f64 v[58:59], v[66:67], -0.5, v[78:79]
	v_add_f64 v[56:57], v[56:57], -v[64:65]
	v_fma_f64 v[20:21], v[26:27], s[6:7], v[20:21]
	ds_write2_b64 v97, v[0:1], v[12:13] offset1:3
	v_add_f64 v[82:83], v[16:17], v[14:15]
	v_fma_f64 v[0:1], v[28:29], s[0:1], v[24:25]
	v_add_f64 v[12:13], v[30:31], v[64:65]
	v_fma_f64 v[14:15], v[28:29], s[6:7], v[24:25]
	v_add_f64 v[44:45], v[44:45], v[46:47]
	v_fma_f64 v[46:47], v[42:43], s[6:7], v[38:39]
	v_fma_f64 v[38:39], v[42:43], s[0:1], v[38:39]
	v_add_f64 v[42:43], v[52:53], v[62:63]
	v_fma_f64 v[52:53], v[48:49], s[6:7], v[40:41]
	v_mul_u32_u24_e32 v16, 0x48, v118
	v_lshlrev_b32_e32 v17, 3, v119
	v_fma_f64 v[40:41], v[48:49], s[0:1], v[40:41]
	v_add3_u32 v98, 0, v16, v17
	v_add_f64 v[48:49], v[54:55], v[50:51]
	v_fma_f64 v[50:51], v[56:57], s[6:7], v[58:59]
	ds_write_b64 v97, v[20:21] offset:48
	ds_write2_b64 v98, v[12:13], v[0:1] offset1:3
	ds_write_b64 v98, v[14:15] offset:48
	s_waitcnt lgkmcnt(0)
	; wave barrier
	s_waitcnt lgkmcnt(0)
	ds_read_b64 v[84:85], v104
	ds_read_b64 v[86:87], v6
	;; [unrolled: 1-line block ×5, first 2 shown]
	ds_read2_b64 v[12:15], v105 offset0:59 offset1:122
	ds_read2_b64 v[16:19], v106 offset0:55 offset1:118
	;; [unrolled: 1-line block ×5, first 2 shown]
	s_waitcnt lgkmcnt(0)
	; wave barrier
	s_waitcnt lgkmcnt(0)
	ds_write2_b64 v107, v[82:83], v[94:95] offset1:3
	v_fma_f64 v[54:55], v[56:57], s[0:1], v[58:59]
	ds_write_b64 v107, v[32:33] offset:48
	ds_write2_b64 v108, v[36:37], v[70:71] offset1:3
	ds_write_b64 v108, v[34:35] offset:48
	ds_write2_b64 v96, v[44:45], v[46:47] offset1:3
	;; [unrolled: 2-line block ×4, first 2 shown]
	ds_write_b64 v98, v[54:55] offset:48
	v_mov_b32_e32 v52, 57
	v_mul_lo_u16_sdwa v32, v100, v52 dst_sel:DWORD dst_unused:UNUSED_PAD src0_sel:BYTE_0 src1_sel:DWORD
	v_lshrrev_b16_e32 v98, 9, v32
	v_mul_lo_u16_sdwa v36, v102, v52 dst_sel:DWORD dst_unused:UNUSED_PAD src0_sel:BYTE_0 src1_sel:DWORD
	v_mul_lo_u16_e32 v32, 9, v98
	v_lshrrev_b16_e32 v107, 9, v36
	v_sub_u16_e32 v99, v100, v32
	v_mul_lo_u16_e32 v36, 9, v107
	v_lshlrev_b32_sdwa v53, v11, v99 dst_sel:DWORD dst_unused:UNUSED_PAD src0_sel:DWORD src1_sel:BYTE_0
	v_sub_u16_e32 v108, v102, v36
	s_waitcnt lgkmcnt(0)
	; wave barrier
	s_waitcnt lgkmcnt(0)
	global_load_dwordx4 v[32:35], v53, s[8:9] offset:96
	v_lshlrev_b32_sdwa v44, v11, v108 dst_sel:DWORD dst_unused:UNUSED_PAD src0_sel:DWORD src1_sel:BYTE_0
	global_load_dwordx4 v[36:39], v44, s[8:9] offset:96
	global_load_dwordx4 v[40:43], v44, s[8:9] offset:112
	v_mul_lo_u16_sdwa v44, v101, v52 dst_sel:DWORD dst_unused:UNUSED_PAD src0_sel:BYTE_0 src1_sel:DWORD
	v_lshrrev_b16_e32 v109, 9, v44
	v_mul_lo_u16_e32 v44, 9, v109
	v_mul_lo_u16_sdwa v52, v60, v52 dst_sel:DWORD dst_unused:UNUSED_PAD src0_sel:BYTE_0 src1_sel:DWORD
	v_sub_u16_e32 v110, v101, v44
	v_lshrrev_b16_e32 v111, 9, v52
	v_lshlrev_b32_sdwa v54, v11, v110 dst_sel:DWORD dst_unused:UNUSED_PAD src0_sel:DWORD src1_sel:BYTE_0
	v_mul_lo_u16_e32 v52, 9, v111
	global_load_dwordx4 v[44:47], v54, s[8:9] offset:112
	global_load_dwordx4 v[48:51], v54, s[8:9] offset:96
	v_sub_u16_e32 v112, v60, v52
	global_load_dwordx4 v[52:55], v53, s[8:9] offset:112
	v_lshlrev_b32_sdwa v11, v11, v112 dst_sel:DWORD dst_unused:UNUSED_PAD src0_sel:DWORD src1_sel:BYTE_0
	global_load_dwordx4 v[56:59], v11, s[8:9] offset:96
	v_mul_u32_u24_sdwa v60, v61, s10 dst_sel:DWORD dst_unused:UNUSED_PAD src0_sel:WORD_0 src1_sel:DWORD
	v_lshrrev_b32_e32 v113, 19, v60
	v_mul_lo_u16_e32 v60, 9, v113
	v_sub_u16_e32 v114, v61, v60
	v_lshlrev_b32_e32 v76, 5, v114
	global_load_dwordx4 v[60:63], v76, s[8:9] offset:96
	global_load_dwordx4 v[64:67], v11, s[8:9] offset:112
	;; [unrolled: 1-line block ×3, first 2 shown]
	ds_read2_b64 v[76:79], v105 offset0:59 offset1:122
	ds_read2_b64 v[80:83], v106 offset0:181 offset1:244
	s_mov_b32 s10, 0x134454ff
	s_mov_b32 s11, 0xbfee6f0e
	;; [unrolled: 1-line block ×3, first 2 shown]
	s_waitcnt vmcnt(9) lgkmcnt(1)
	v_mul_f64 v[92:93], v[76:77], v[34:35]
	v_mul_f64 v[34:35], v[12:13], v[34:35]
	s_waitcnt vmcnt(8)
	v_mul_f64 v[94:95], v[78:79], v[38:39]
	v_mul_f64 v[38:39], v[14:15], v[38:39]
	s_waitcnt vmcnt(7) lgkmcnt(0)
	v_mul_f64 v[96:97], v[80:81], v[42:43]
	v_mul_f64 v[42:43], v[20:21], v[42:43]
	v_fma_f64 v[92:93], v[12:13], v[32:33], v[92:93]
	v_fma_f64 v[76:77], v[76:77], v[32:33], -v[34:35]
	v_fma_f64 v[94:95], v[14:15], v[36:37], v[94:95]
	ds_read2_b64 v[11:14], v105 offset0:185 offset1:248
	ds_read2_b64 v[32:35], v106 offset0:55 offset1:118
	v_fma_f64 v[36:37], v[78:79], v[36:37], -v[38:39]
	s_waitcnt vmcnt(6)
	v_mul_f64 v[38:39], v[82:83], v[46:47]
	v_mul_f64 v[46:47], v[22:23], v[46:47]
	v_fma_f64 v[78:79], v[20:21], v[40:41], v[96:97]
	s_waitcnt vmcnt(5) lgkmcnt(1)
	v_mul_f64 v[20:21], v[11:12], v[50:51]
	v_fma_f64 v[40:41], v[80:81], v[40:41], -v[42:43]
	v_mul_f64 v[42:43], v[24:25], v[50:51]
	s_waitcnt vmcnt(4) lgkmcnt(0)
	v_mul_f64 v[50:51], v[34:35], v[54:55]
	v_mul_f64 v[54:55], v[18:19], v[54:55]
	v_fma_f64 v[22:23], v[22:23], v[44:45], v[38:39]
	v_fma_f64 v[38:39], v[82:83], v[44:45], -v[46:47]
	s_waitcnt vmcnt(3)
	v_mul_f64 v[44:45], v[13:14], v[58:59]
	v_mul_f64 v[46:47], v[26:27], v[58:59]
	v_fma_f64 v[24:25], v[24:25], v[48:49], v[20:21]
	v_fma_f64 v[11:12], v[11:12], v[48:49], -v[42:43]
	v_fma_f64 v[42:43], v[18:19], v[52:53], v[50:51]
	ds_read2_b64 v[18:21], v4 offset0:51 offset1:114
	s_waitcnt vmcnt(2)
	v_mul_f64 v[48:49], v[32:33], v[62:63]
	v_fma_f64 v[34:35], v[34:35], v[52:53], -v[54:55]
	v_fma_f64 v[26:27], v[26:27], v[56:57], v[44:45]
	v_fma_f64 v[13:14], v[13:14], v[56:57], -v[46:47]
	v_mul_f64 v[44:45], v[16:17], v[62:63]
	s_waitcnt vmcnt(1) lgkmcnt(0)
	v_mul_f64 v[46:47], v[18:19], v[66:67]
	v_mul_f64 v[50:51], v[28:29], v[66:67]
	v_add_f64 v[52:53], v[92:93], v[42:43]
	v_fma_f64 v[15:16], v[16:17], v[60:61], v[48:49]
	s_waitcnt vmcnt(0)
	v_mul_f64 v[48:49], v[20:21], v[70:71]
	v_mul_f64 v[54:55], v[30:31], v[70:71]
	v_add_f64 v[56:57], v[76:77], v[34:35]
	v_fma_f64 v[32:33], v[32:33], v[60:61], -v[44:45]
	v_add_f64 v[44:45], v[84:85], v[92:93]
	v_fma_f64 v[28:29], v[28:29], v[64:65], v[46:47]
	v_fma_f64 v[17:18], v[18:19], v[64:65], -v[50:51]
	v_fma_f64 v[46:47], v[52:53], -0.5, v[84:85]
	v_add_f64 v[50:51], v[76:77], -v[34:35]
	v_fma_f64 v[30:31], v[30:31], v[68:69], v[48:49]
	v_fma_f64 v[19:20], v[20:21], v[68:69], -v[54:55]
	ds_read_b64 v[48:49], v10
	ds_read_b64 v[54:55], v104
	v_add_f64 v[44:45], v[44:45], v[42:43]
	ds_read_b64 v[58:59], v6
	ds_read_b64 v[60:61], v7
	;; [unrolled: 1-line block ×3, first 2 shown]
	v_mul_u32_u24_e32 v10, 0xd8, v98
	v_fma_f64 v[52:53], v[50:51], s[0:1], v[46:47]
	v_lshlrev_b32_sdwa v21, v9, v99 dst_sel:DWORD dst_unused:UNUSED_PAD src0_sel:DWORD src1_sel:BYTE_0
	v_add3_u32 v84, 0, v10, v21
	s_waitcnt lgkmcnt(3)
	v_add_f64 v[64:65], v[54:55], v[76:77]
	s_waitcnt lgkmcnt(0)
	; wave barrier
	v_add_f64 v[66:67], v[94:95], v[78:79]
	s_waitcnt lgkmcnt(0)
	v_fma_f64 v[54:55], v[56:57], -0.5, v[54:55]
	v_add_f64 v[42:43], v[92:93], -v[42:43]
	ds_write2_b64 v84, v[44:45], v[52:53] offset1:9
	v_add_f64 v[52:53], v[36:37], v[40:41]
	v_add_f64 v[56:57], v[36:37], -v[40:41]
	v_add_f64 v[36:37], v[58:59], v[36:37]
	v_fma_f64 v[44:45], v[50:51], s[6:7], v[46:47]
	v_add_f64 v[46:47], v[64:65], v[34:35]
	v_fma_f64 v[50:51], v[66:67], -0.5, v[86:87]
	v_fma_f64 v[64:65], v[42:43], s[6:7], v[54:55]
	v_fma_f64 v[42:43], v[42:43], s[0:1], v[54:55]
	v_add_f64 v[54:55], v[24:25], v[22:23]
	v_add_f64 v[66:67], v[94:95], -v[78:79]
	v_add_f64 v[40:41], v[36:37], v[40:41]
	v_add_f64 v[36:37], v[11:12], v[38:39]
	v_fma_f64 v[52:53], v[52:53], -0.5, v[58:59]
	v_add_f64 v[34:35], v[86:87], v[94:95]
	v_fma_f64 v[58:59], v[56:57], s[0:1], v[50:51]
	v_fma_f64 v[50:51], v[56:57], s[6:7], v[50:51]
	v_fma_f64 v[54:55], v[54:55], -0.5, v[88:89]
	v_add_f64 v[56:57], v[88:89], v[24:25]
	v_add_f64 v[68:69], v[11:12], -v[38:39]
	v_add_f64 v[10:11], v[60:61], v[11:12]
	v_add_f64 v[24:25], v[24:25], -v[22:23]
	v_fma_f64 v[36:37], v[36:37], -0.5, v[60:61]
	v_add_f64 v[60:61], v[26:27], v[28:29]
	v_fma_f64 v[70:71], v[66:67], s[6:7], v[52:53]
	v_fma_f64 v[52:53], v[66:67], s[0:1], v[52:53]
	v_add_f64 v[66:67], v[90:91], v[26:27]
	v_add_f64 v[34:35], v[34:35], v[78:79]
	;; [unrolled: 1-line block ×3, first 2 shown]
	v_fma_f64 v[56:57], v[68:69], s[0:1], v[54:55]
	v_fma_f64 v[54:55], v[68:69], s[6:7], v[54:55]
	v_add_f64 v[68:69], v[10:11], v[38:39]
	v_add_f64 v[10:11], v[13:14], v[17:18]
	v_fma_f64 v[76:77], v[24:25], s[6:7], v[36:37]
	v_fma_f64 v[38:39], v[60:61], -0.5, v[90:91]
	v_add_f64 v[60:61], v[13:14], -v[17:18]
	v_fma_f64 v[78:79], v[24:25], s[0:1], v[36:37]
	v_add_f64 v[23:24], v[15:16], v[30:31]
	v_add_f64 v[36:37], v[66:67], v[28:29]
	v_add_f64 v[25:26], v[26:27], -v[28:29]
	v_add_f64 v[27:28], v[32:33], v[19:20]
	v_fma_f64 v[10:11], v[10:11], -0.5, v[62:63]
	v_add_f64 v[12:13], v[62:63], v[13:14]
	v_fma_f64 v[62:63], v[60:61], s[0:1], v[38:39]
	v_fma_f64 v[38:39], v[60:61], s[6:7], v[38:39]
	v_fma_f64 v[23:24], v[23:24], -0.5, v[0:1]
	v_add_f64 v[0:1], v[0:1], v[15:16]
	v_add_f64 v[60:61], v[32:33], -v[19:20]
	v_add_f64 v[14:15], v[15:16], -v[30:31]
	v_fma_f64 v[27:28], v[27:28], -0.5, v[48:49]
	v_add_f64 v[32:33], v[48:49], v[32:33]
	v_fma_f64 v[66:67], v[25:26], s[6:7], v[10:11]
	v_fma_f64 v[80:81], v[25:26], s[0:1], v[10:11]
	v_add_f64 v[48:49], v[12:13], v[17:18]
	v_add_f64 v[0:1], v[0:1], v[30:31]
	v_fma_f64 v[10:11], v[60:61], s[0:1], v[23:24]
	v_fma_f64 v[12:13], v[60:61], s[6:7], v[23:24]
	;; [unrolled: 1-line block ×4, first 2 shown]
	v_mul_u32_u24_e32 v14, 0xd8, v107
	v_lshlrev_b32_sdwa v15, v9, v108 dst_sel:DWORD dst_unused:UNUSED_PAD src0_sel:DWORD src1_sel:BYTE_0
	v_add_f64 v[18:19], v[32:33], v[19:20]
	v_add3_u32 v20, 0, v14, v15
	v_mul_u32_u24_e32 v14, 0xd8, v109
	v_lshlrev_b32_sdwa v15, v9, v110 dst_sel:DWORD dst_unused:UNUSED_PAD src0_sel:DWORD src1_sel:BYTE_0
	v_add3_u32 v23, 0, v14, v15
	v_mul_u32_u24_e32 v14, 0xd8, v111
	v_lshlrev_b32_sdwa v15, v9, v112 dst_sel:DWORD dst_unused:UNUSED_PAD src0_sel:DWORD src1_sel:BYTE_0
	ds_write_b64 v84, v[44:45] offset:144
	ds_write2_b64 v20, v[34:35], v[58:59] offset1:9
	ds_write_b64 v20, v[50:51] offset:144
	ds_write2_b64 v23, v[21:22], v[56:57] offset1:9
	ds_write_b64 v23, v[54:55] offset:144
	v_add3_u32 v21, 0, v14, v15
	v_mul_u32_u24_e32 v14, 0xd8, v113
	v_lshlrev_b32_e32 v15, 3, v114
	v_add3_u32 v22, 0, v14, v15
	ds_write2_b64 v21, v[36:37], v[62:63] offset1:9
	ds_write_b64 v21, v[38:39] offset:144
	ds_write2_b64 v22, v[0:1], v[10:11] offset1:9
	ds_write_b64 v22, v[12:13] offset:144
	s_waitcnt lgkmcnt(0)
	; wave barrier
	s_waitcnt lgkmcnt(0)
	ds_read2_b64 v[24:27], v104 offset1:252
	ds_read2_b64 v[10:13], v105 offset0:59 offset1:122
	ds_read2_b64 v[14:17], v106 offset0:55 offset1:118
	;; [unrolled: 1-line block ×3, first 2 shown]
	ds_read_b64 v[111:112], v6
	ds_read2_b64 v[32:35], v105 offset0:185 offset1:248
	ds_read2_b64 v[36:39], v4 offset0:51 offset1:114
	ds_read_b64 v[113:114], v8
	ds_read_b64 v[0:1], v7
	s_waitcnt lgkmcnt(0)
	; wave barrier
	s_waitcnt lgkmcnt(0)
	ds_write2_b64 v84, v[46:47], v[64:65] offset1:9
	ds_write_b64 v84, v[42:43] offset:144
	ds_write2_b64 v20, v[40:41], v[70:71] offset1:9
	ds_write_b64 v20, v[52:53] offset:144
	;; [unrolled: 2-line block ×5, first 2 shown]
	v_mov_b32_e32 v22, 19
	v_mul_lo_u16_sdwa v18, v100, v22 dst_sel:DWORD dst_unused:UNUSED_PAD src0_sel:BYTE_0 src1_sel:DWORD
	v_lshrrev_b16_e32 v117, 9, v18
	v_mul_lo_u16_sdwa v40, v102, v22 dst_sel:DWORD dst_unused:UNUSED_PAD src0_sel:BYTE_0 src1_sel:DWORD
	v_mul_lo_u16_e32 v18, 27, v117
	v_lshrrev_b16_e32 v119, 9, v40
	v_sub_u16_e32 v118, v100, v18
	v_mov_b32_e32 v23, 6
	v_mul_lo_u16_e32 v40, 27, v119
	v_lshlrev_b32_sdwa v64, v23, v118 dst_sel:DWORD dst_unused:UNUSED_PAD src0_sel:DWORD src1_sel:BYTE_0
	v_sub_u16_e32 v120, v102, v40
	s_waitcnt lgkmcnt(0)
	; wave barrier
	s_waitcnt lgkmcnt(0)
	global_load_dwordx4 v[18:21], v64, s[8:9] offset:416
	v_lshlrev_b32_sdwa v65, v23, v120 dst_sel:DWORD dst_unused:UNUSED_PAD src0_sel:DWORD src1_sel:BYTE_0
	global_load_dwordx4 v[40:43], v65, s[8:9] offset:416
	global_load_dwordx4 v[44:47], v64, s[8:9] offset:400
	v_mul_lo_u16_sdwa v22, v101, v22 dst_sel:DWORD dst_unused:UNUSED_PAD src0_sel:BYTE_0 src1_sel:DWORD
	v_lshrrev_b16_e32 v121, 9, v22
	v_mul_lo_u16_e32 v22, 27, v121
	v_sub_u16_e32 v122, v101, v22
	v_lshlrev_b32_sdwa v22, v23, v122 dst_sel:DWORD dst_unused:UNUSED_PAD src0_sel:DWORD src1_sel:BYTE_0
	global_load_dwordx4 v[48:51], v22, s[8:9] offset:384
	global_load_dwordx4 v[52:55], v65, s[8:9] offset:400
	;; [unrolled: 1-line block ×9, first 2 shown]
	ds_read2_b64 v[66:69], v106 offset0:55 offset1:118
	ds_read2_b64 v[88:91], v105 offset0:185 offset1:248
	s_mov_b32 s6, 0x4755a5e
	s_mov_b32 s7, 0xbfe2cf23
	;; [unrolled: 1-line block ×3, first 2 shown]
	v_cmp_gt_u32_e64 s[0:1], 9, v100
	s_waitcnt vmcnt(11) lgkmcnt(1)
	v_mul_f64 v[64:65], v[66:67], v[20:21]
	s_waitcnt vmcnt(10)
	v_mul_f64 v[86:87], v[68:69], v[42:43]
	v_mul_f64 v[70:71], v[14:15], v[20:21]
	ds_read2_b64 v[20:23], v105 offset0:59 offset1:122
	v_mul_f64 v[42:43], v[16:17], v[42:43]
	s_waitcnt vmcnt(9) lgkmcnt(0)
	v_mul_f64 v[115:116], v[22:23], v[46:47]
	v_fma_f64 v[80:81], v[14:15], v[18:19], v[64:65]
	v_fma_f64 v[64:65], v[16:17], v[40:41], v[86:87]
	v_mul_f64 v[16:17], v[12:13], v[46:47]
	s_waitcnt vmcnt(8)
	v_mul_f64 v[46:47], v[20:21], v[50:51]
	v_fma_f64 v[66:67], v[66:67], v[18:19], -v[70:71]
	v_fma_f64 v[18:19], v[68:69], v[40:41], -v[42:43]
	v_mul_f64 v[40:41], v[10:11], v[50:51]
	v_fma_f64 v[86:87], v[12:13], v[44:45], v[115:116]
	ds_read2_b64 v[12:15], v106 offset0:181 offset1:244
	s_waitcnt vmcnt(7)
	v_mul_f64 v[42:43], v[88:89], v[54:55]
	v_fma_f64 v[70:71], v[22:23], v[44:45], -v[16:17]
	v_fma_f64 v[22:23], v[10:11], v[48:49], v[46:47]
	s_waitcnt vmcnt(6)
	v_mul_f64 v[10:11], v[90:91], v[58:59]
	v_mul_f64 v[50:51], v[32:33], v[54:55]
	;; [unrolled: 1-line block ×3, first 2 shown]
	s_waitcnt vmcnt(5) lgkmcnt(0)
	v_mul_f64 v[54:55], v[14:15], v[62:63]
	v_fma_f64 v[16:17], v[20:21], v[48:49], -v[40:41]
	v_fma_f64 v[68:69], v[32:33], v[52:53], v[42:43]
	v_mul_f64 v[40:41], v[30:31], v[62:63]
	s_waitcnt vmcnt(4)
	v_mul_f64 v[42:43], v[12:13], v[78:79]
	v_fma_f64 v[46:47], v[34:35], v[56:57], v[10:11]
	v_mul_f64 v[10:11], v[28:29], v[78:79]
	v_fma_f64 v[20:21], v[90:91], v[56:57], -v[44:45]
	v_fma_f64 v[90:91], v[30:31], v[60:61], v[54:55]
	ds_read2_b64 v[30:33], v4 offset0:51 offset1:114
	ds_read_b64 v[34:35], v8
	ds_read_b64 v[56:57], v7
	s_waitcnt vmcnt(1)
	v_mul_f64 v[48:49], v[38:39], v[98:99]
	v_fma_f64 v[54:55], v[28:29], v[76:77], v[42:43]
	v_fma_f64 v[44:45], v[12:13], v[76:77], -v[10:11]
	s_waitcnt lgkmcnt(2)
	v_mul_f64 v[10:11], v[32:33], v[98:99]
	ds_read_b64 v[98:99], v6
	s_waitcnt lgkmcnt(2)
	v_mul_f64 v[7:8], v[34:35], v[94:95]
	v_mul_f64 v[28:29], v[30:31], v[84:85]
	v_mul_f64 v[42:43], v[113:114], v[94:95]
	v_fma_f64 v[78:79], v[14:15], v[60:61], -v[40:41]
	v_mul_f64 v[40:41], v[36:37], v[84:85]
	ds_read2_b64 v[12:15], v104 offset1:252
	v_fma_f64 v[58:59], v[88:89], v[52:53], -v[50:51]
	v_fma_f64 v[62:63], v[38:39], v[96:97], v[10:11]
	v_fma_f64 v[94:95], v[113:114], v[92:93], v[7:8]
	;; [unrolled: 1-line block ×3, first 2 shown]
	s_waitcnt vmcnt(0) lgkmcnt(0)
	v_mul_f64 v[7:8], v[14:15], v[109:110]
	v_add_f64 v[28:29], v[86:87], v[80:81]
	v_fma_f64 v[92:93], v[34:35], v[92:93], -v[42:43]
	v_fma_f64 v[60:61], v[30:31], v[82:83], -v[40:41]
	;; [unrolled: 1-line block ×3, first 2 shown]
	v_mul_f64 v[10:11], v[26:27], v[109:110]
	v_add_f64 v[30:31], v[94:95], v[90:91]
	v_add_f64 v[32:33], v[24:25], v[94:95]
	v_fma_f64 v[96:97], v[26:27], v[107:108], v[7:8]
	v_fma_f64 v[7:8], v[28:29], -0.5, v[24:25]
	v_add_f64 v[26:27], v[92:93], -v[78:79]
	v_add_f64 v[28:29], v[94:95], -v[86:87]
	;; [unrolled: 1-line block ×3, first 2 shown]
	v_fma_f64 v[14:15], v[14:15], v[107:108], -v[10:11]
	v_fma_f64 v[10:11], v[30:31], -0.5, v[24:25]
	v_add_f64 v[24:25], v[32:33], v[86:87]
	v_add_f64 v[32:33], v[70:71], -v[66:67]
	v_add_f64 v[36:37], v[80:81], -v[90:91]
	v_fma_f64 v[30:31], v[26:27], s[10:11], v[7:8]
	v_fma_f64 v[7:8], v[26:27], s[16:17], v[7:8]
	v_add_f64 v[28:29], v[28:29], v[34:35]
	v_mul_u32_u24_e32 v34, 0x438, v117
	v_lshlrev_b32_sdwa v35, v9, v118 dst_sel:DWORD dst_unused:UNUSED_PAD src0_sel:DWORD src1_sel:BYTE_0
	v_add3_u32 v107, 0, v34, v35
	v_add_f64 v[34:35], v[86:87], -v[94:95]
	v_fma_f64 v[38:39], v[32:33], s[16:17], v[10:11]
	v_fma_f64 v[10:11], v[32:33], s[10:11], v[10:11]
	v_add_f64 v[24:25], v[24:25], v[80:81]
	v_fma_f64 v[30:31], v[32:33], s[6:7], v[30:31]
	v_fma_f64 v[7:8], v[32:33], s[18:19], v[7:8]
	s_waitcnt lgkmcnt(0)
	; wave barrier
	v_add_f64 v[34:35], v[34:35], v[36:37]
	v_fma_f64 v[36:37], v[26:27], s[6:7], v[38:39]
	v_fma_f64 v[10:11], v[26:27], s[18:19], v[10:11]
	v_add_f64 v[24:25], v[24:25], v[90:91]
	v_fma_f64 v[26:27], v[28:29], s[12:13], v[30:31]
	v_add_f64 v[38:39], v[96:97], v[88:89]
	v_add_f64 v[32:33], v[96:97], -v[68:69]
	v_fma_f64 v[7:8], v[28:29], s[12:13], v[7:8]
	v_add_f64 v[30:31], v[68:69], v[64:65]
	v_fma_f64 v[36:37], v[34:35], s[12:13], v[36:37]
	v_fma_f64 v[10:11], v[34:35], s[12:13], v[10:11]
	v_add_f64 v[34:35], v[88:89], -v[64:65]
	ds_write2_b64 v107, v[24:25], v[26:27] offset1:27
	ds_write2_b64 v107, v[36:37], v[10:11] offset0:54 offset1:81
	v_add_f64 v[10:11], v[58:59], -v[18:19]
	v_fma_f64 v[24:25], v[38:39], -0.5, v[111:112]
	v_add_f64 v[42:43], v[14:15], -v[60:61]
	v_add_f64 v[28:29], v[32:33], v[34:35]
	ds_write_b64 v107, v[7:8] offset:864
	v_add_f64 v[7:8], v[68:69], -v[96:97]
	v_add_f64 v[34:35], v[64:65], -v[88:89]
	v_mul_u32_u24_e32 v38, 0x438, v119
	v_lshlrev_b32_sdwa v39, v9, v120 dst_sel:DWORD dst_unused:UNUSED_PAD src0_sel:DWORD src1_sel:BYTE_0
	v_fma_f64 v[36:37], v[10:11], s[16:17], v[24:25]
	v_add_f64 v[40:41], v[111:112], v[96:97]
	v_fma_f64 v[30:31], v[30:31], -0.5, v[111:112]
	v_add3_u32 v108, 0, v38, v39
	v_add_f64 v[38:39], v[46:47], v[54:55]
	v_add_f64 v[7:8], v[7:8], v[34:35]
	v_fma_f64 v[24:25], v[10:11], s[10:11], v[24:25]
	v_add_f64 v[48:49], v[16:17], -v[52:53]
	v_fma_f64 v[34:35], v[42:43], s[6:7], v[36:37]
	v_add_f64 v[36:37], v[22:23], v[62:63]
	v_add_f64 v[26:27], v[40:41], v[68:69]
	v_fma_f64 v[32:33], v[42:43], s[10:11], v[30:31]
	v_add_f64 v[40:41], v[0:1], v[22:23]
	v_fma_f64 v[38:39], v[38:39], -0.5, v[0:1]
	v_add_f64 v[50:51], v[20:21], -v[44:45]
	v_fma_f64 v[30:31], v[42:43], s[16:17], v[30:31]
	v_fma_f64 v[24:25], v[42:43], s[18:19], v[24:25]
	v_fma_f64 v[0:1], v[36:37], -0.5, v[0:1]
	v_add_f64 v[26:27], v[26:27], v[64:65]
	v_fma_f64 v[32:33], v[10:11], s[6:7], v[32:33]
	v_add_f64 v[36:37], v[22:23], -v[46:47]
	v_add_f64 v[42:43], v[62:63], -v[54:55]
	v_add_f64 v[40:41], v[40:41], v[46:47]
	v_fma_f64 v[76:77], v[48:49], s[10:11], v[38:39]
	v_add_f64 v[82:83], v[46:47], -v[22:23]
	v_add_f64 v[84:85], v[54:55], -v[62:63]
	v_fma_f64 v[109:110], v[50:51], s[16:17], v[0:1]
	v_fma_f64 v[0:1], v[50:51], s[10:11], v[0:1]
	;; [unrolled: 1-line block ×4, first 2 shown]
	v_add_f64 v[26:27], v[26:27], v[88:89]
	v_fma_f64 v[32:33], v[28:29], s[12:13], v[32:33]
	v_add_f64 v[30:31], v[36:37], v[42:43]
	v_add_f64 v[36:37], v[40:41], v[54:55]
	v_fma_f64 v[40:41], v[50:51], s[6:7], v[76:77]
	v_add_f64 v[42:43], v[82:83], v[84:85]
	v_fma_f64 v[76:77], v[48:49], s[6:7], v[109:110]
	v_fma_f64 v[0:1], v[48:49], s[18:19], v[0:1]
	;; [unrolled: 1-line block ×6, first 2 shown]
	ds_write2_b64 v108, v[26:27], v[32:33] offset1:27
	v_add_f64 v[24:25], v[36:37], v[62:63]
	v_fma_f64 v[26:27], v[30:31], s[12:13], v[40:41]
	v_fma_f64 v[28:29], v[42:43], s[12:13], v[76:77]
	v_fma_f64 v[0:1], v[42:43], s[12:13], v[0:1]
	v_fma_f64 v[76:77], v[30:31], s[12:13], v[38:39]
	ds_write2_b64 v108, v[34:35], v[7:8] offset0:54 offset1:81
	ds_write_b64 v108, v[10:11] offset:864
	v_lshlrev_b32_sdwa v7, v9, v122 dst_sel:DWORD dst_unused:UNUSED_PAD src0_sel:DWORD src1_sel:BYTE_0
	v_mul_u32_u24_e32 v8, 0x438, v121
	v_add3_u32 v109, 0, v8, v7
	ds_write2_b64 v109, v[24:25], v[26:27] offset1:27
	ds_write2_b64 v109, v[28:29], v[0:1] offset0:54 offset1:81
	ds_write_b64 v109, v[76:77] offset:864
	s_waitcnt lgkmcnt(0)
	; wave barrier
	s_waitcnt lgkmcnt(0)
	ds_read2_b64 v[24:27], v104 offset1:135
	v_add_u32_e32 v110, 0x400, v104
	v_add_u32_e32 v112, 0xc00, v104
	;; [unrolled: 1-line block ×3, first 2 shown]
	ds_read_b64 v[82:83], v6
	ds_read_b64 v[84:85], v104 offset:6984
	ds_read2_b64 v[48:51], v110 offset0:70 offset1:142
	ds_read2_b64 v[40:43], v105 offset0:77 offset1:149
	;; [unrolled: 1-line block ×5, first 2 shown]
	v_sub_u32_e32 v0, 0, v5
	v_sub_u32_e32 v114, 0, v3
	v_add_u32_e32 v111, v2, v0
                                        ; implicit-def: $vgpr6_vgpr7
                                        ; implicit-def: $vgpr2_vgpr3
                                        ; implicit-def: $vgpr10_vgpr11
	s_and_saveexec_b64 s[20:21], s[0:1]
	s_cbranch_execz .LBB0_15
; %bb.14:
	ds_read_b64 v[76:77], v111
	ds_read2_b64 v[8:11], v105 offset0:5 offset1:140
	ds_read2_b64 v[0:3], v106 offset0:19 offset1:154
	;; [unrolled: 1-line block ×3, first 2 shown]
.LBB0_15:
	s_or_b64 exec, exec, s[20:21]
	v_add_f64 v[115:116], v[12:13], v[92:93]
	v_add_f64 v[117:118], v[70:71], v[66:67]
	v_add_f64 v[90:91], v[94:95], -v[90:91]
	v_add_f64 v[94:95], v[92:93], v[78:79]
	v_add_f64 v[80:81], v[86:87], -v[80:81]
	v_add_f64 v[86:87], v[92:93], -v[70:71]
	v_add_f64 v[121:122], v[58:59], v[18:19]
	v_add_f64 v[119:120], v[78:79], -v[66:67]
	v_add_f64 v[115:116], v[115:116], v[70:71]
	v_fma_f64 v[117:118], v[117:118], -0.5, v[12:13]
	v_add_f64 v[70:71], v[70:71], -v[92:93]
	v_add_f64 v[92:93], v[98:99], v[14:15]
	v_fma_f64 v[12:13], v[94:95], -0.5, v[12:13]
	v_add_f64 v[123:124], v[66:67], -v[78:79]
	v_add_f64 v[88:89], v[96:97], -v[88:89]
	v_fma_f64 v[96:97], v[121:122], -0.5, v[98:99]
	v_add_f64 v[66:67], v[115:116], v[66:67]
	v_fma_f64 v[94:95], v[90:91], s[16:17], v[117:118]
	v_fma_f64 v[115:116], v[90:91], s[10:11], v[117:118]
	v_add_f64 v[92:93], v[92:93], v[58:59]
	v_fma_f64 v[117:118], v[80:81], s[10:11], v[12:13]
	v_fma_f64 v[12:13], v[80:81], s[16:17], v[12:13]
	v_add_f64 v[86:87], v[86:87], v[119:120]
	v_add_f64 v[64:65], v[68:69], -v[64:65]
	v_add_f64 v[66:67], v[66:67], v[78:79]
	v_fma_f64 v[78:79], v[80:81], s[18:19], v[94:95]
	v_fma_f64 v[94:95], v[88:89], s[16:17], v[96:97]
	;; [unrolled: 1-line block ×4, first 2 shown]
	v_add_f64 v[70:71], v[70:71], v[123:124]
	v_fma_f64 v[12:13], v[90:91], s[6:7], v[12:13]
	v_add_f64 v[90:91], v[92:93], v[18:19]
	v_add_f64 v[115:116], v[14:15], v[60:61]
	v_add_f64 v[68:69], v[14:15], -v[58:59]
	v_fma_f64 v[92:93], v[64:65], s[18:19], v[94:95]
	v_fma_f64 v[94:95], v[86:87], s[12:13], v[78:79]
	;; [unrolled: 1-line block ×5, first 2 shown]
	v_add_f64 v[70:71], v[90:91], v[60:61]
	v_add_f64 v[90:91], v[20:21], v[44:45]
	v_add_f64 v[14:15], v[58:59], -v[14:15]
	v_add_f64 v[58:59], v[16:17], v[52:53]
	v_add_f64 v[119:120], v[60:61], -v[18:19]
	v_fma_f64 v[78:79], v[115:116], -0.5, v[98:99]
	v_add_f64 v[18:19], v[18:19], -v[60:61]
	v_fma_f64 v[96:97], v[88:89], s[10:11], v[96:97]
	v_add_f64 v[60:61], v[56:57], v[16:17]
	v_fma_f64 v[90:91], v[90:91], -0.5, v[56:57]
	v_add_f64 v[22:23], v[22:23], -v[62:63]
	v_add_f64 v[46:47], v[46:47], -v[54:55]
	v_fma_f64 v[54:55], v[58:59], -0.5, v[56:57]
	v_fma_f64 v[98:99], v[64:65], s[10:11], v[78:79]
	v_add_f64 v[14:15], v[14:15], v[18:19]
	v_fma_f64 v[18:19], v[64:65], s[16:17], v[78:79]
	v_fma_f64 v[62:63], v[64:65], s[6:7], v[96:97]
	v_add_f64 v[56:57], v[60:61], v[20:21]
	v_fma_f64 v[58:59], v[22:23], s[16:17], v[90:91]
	v_add_f64 v[60:61], v[16:17], -v[20:21]
	v_add_f64 v[64:65], v[52:53], -v[44:45]
	v_fma_f64 v[78:79], v[22:23], s[10:11], v[90:91]
	v_fma_f64 v[90:91], v[46:47], s[10:11], v[54:55]
	v_add_f64 v[16:17], v[20:21], -v[16:17]
	v_add_f64 v[20:21], v[44:45], -v[52:53]
	v_fma_f64 v[54:55], v[46:47], s[16:17], v[54:55]
	v_add_f64 v[68:69], v[68:69], v[119:120]
	v_fma_f64 v[96:97], v[88:89], s[18:19], v[98:99]
	v_fma_f64 v[18:19], v[88:89], s[6:7], v[18:19]
	v_add_f64 v[44:45], v[56:57], v[44:45]
	v_fma_f64 v[56:57], v[46:47], s[18:19], v[58:59]
	v_add_f64 v[58:59], v[60:61], v[64:65]
	v_fma_f64 v[46:47], v[46:47], s[6:7], v[78:79]
	v_fma_f64 v[60:61], v[22:23], s[18:19], v[90:91]
	v_add_f64 v[16:17], v[16:17], v[20:21]
	v_fma_f64 v[20:21], v[22:23], s[6:7], v[54:55]
	v_fma_f64 v[92:93], v[68:69], s[12:13], v[92:93]
	;; [unrolled: 1-line block ×5, first 2 shown]
	v_add_f64 v[18:19], v[44:45], v[52:53]
	v_fma_f64 v[44:45], v[58:59], s[12:13], v[56:57]
	v_fma_f64 v[78:79], v[58:59], s[12:13], v[46:47]
	;; [unrolled: 1-line block ×4, first 2 shown]
	s_waitcnt lgkmcnt(0)
	; wave barrier
	s_waitcnt lgkmcnt(0)
	ds_write2_b64 v107, v[66:67], v[94:95] offset1:27
	ds_write2_b64 v107, v[86:87], v[12:13] offset0:54 offset1:81
	ds_write_b64 v107, v[80:81] offset:864
	ds_write2_b64 v108, v[70:71], v[92:93] offset1:27
	ds_write2_b64 v108, v[54:55], v[14:15] offset0:54 offset1:81
	ds_write_b64 v108, v[22:23] offset:864
	;; [unrolled: 3-line block ×3, first 2 shown]
	s_waitcnt lgkmcnt(0)
	; wave barrier
	s_waitcnt lgkmcnt(0)
	ds_read2_b64 v[44:47], v104 offset1:135
	ds_read2_b64 v[68:71], v110 offset0:70 offset1:142
	ds_read2_b64 v[52:55], v105 offset0:77 offset1:149
	;; [unrolled: 1-line block ×5, first 2 shown]
	v_add_u32_e32 v12, v103, v114
	ds_read_b64 v[86:87], v12
	ds_read_b64 v[88:89], v104 offset:6984
                                        ; implicit-def: $vgpr18_vgpr19
                                        ; implicit-def: $vgpr14_vgpr15
                                        ; implicit-def: $vgpr22_vgpr23
	s_and_saveexec_b64 s[6:7], s[0:1]
	s_cbranch_execz .LBB0_17
; %bb.16:
	v_add_u32_e32 v12, 0x800, v104
	ds_read2_b64 v[20:23], v12 offset0:5 offset1:140
	v_add_u32_e32 v12, 0x1000, v104
	v_add_u32_e32 v16, 0x1800, v104
	ds_read_b64 v[78:79], v111
	ds_read2_b64 v[12:15], v12 offset0:19 offset1:154
	ds_read2_b64 v[16:19], v16 offset0:33 offset1:168
.LBB0_17:
	s_or_b64 exec, exec, s[6:7]
	s_and_saveexec_b64 s[6:7], vcc
	s_cbranch_execz .LBB0_20
; %bb.18:
	v_mul_i32_i24_e32 v80, 6, v102
	v_mov_b32_e32 v81, 0
	v_lshlrev_b64 v[98:99], 4, v[80:81]
	v_mul_u32_u24_e32 v90, 6, v100
	v_mov_b32_e32 v80, s9
	v_lshlrev_b32_e32 v138, 4, v90
	v_add_co_u32_e32 v98, vcc, s8, v98
	global_load_dwordx4 v[90:93], v138, s[8:9] offset:2160
	global_load_dwordx4 v[94:97], v138, s[8:9] offset:2128
	v_addc_co_u32_e32 v99, vcc, v80, v99, vcc
	global_load_dwordx4 v[102:105], v138, s[8:9] offset:2144
	global_load_dwordx4 v[106:109], v138, s[8:9] offset:2176
	global_load_dwordx4 v[110:113], v[98:99], off offset:2192
	global_load_dwordx4 v[114:117], v[98:99], off offset:2144
	;; [unrolled: 1-line block ×6, first 2 shown]
	global_load_dwordx4 v[134:137], v138, s[8:9] offset:2192
	s_nop 0
	global_load_dwordx4 v[138:141], v138, s[8:9] offset:2112
	s_mov_b32 s22, 0xe976ee23
	s_mov_b32 s18, 0x36b3c0b5
	;; [unrolled: 1-line block ×8, first 2 shown]
	v_mul_lo_u32 v80, s5, v74
	v_mul_lo_u32 v98, s4, v75
	v_mad_u64_u32 v[74:75], s[4:5], s4, v74, 0
	s_mov_b32 s10, 0xb247c609
	s_mov_b32 s6, 0xaaaaaaaa
	;; [unrolled: 1-line block ×10, first 2 shown]
	v_add3_u32 v75, v75, v98, v80
	s_mov_b32 s4, 0x37c3f68c
	s_mov_b32 s5, 0xbfdc38aa
	;; [unrolled: 1-line block ×3, first 2 shown]
	s_movk_i32 s28, 0x87
	s_waitcnt vmcnt(9)
	v_mul_f64 v[144:145], v[42:43], v[102:103]
	s_waitcnt vmcnt(8)
	v_mul_f64 v[146:147], v[38:39], v[106:107]
	;; [unrolled: 2-line block ×3, first 2 shown]
	v_mul_f64 v[84:85], v[84:85], v[112:113]
	s_waitcnt vmcnt(6)
	v_mul_f64 v[150:151], v[28:29], v[114:115]
	v_mul_f64 v[28:29], v[28:29], v[116:117]
	s_waitcnt vmcnt(5)
	v_mul_f64 v[152:153], v[36:37], v[118:119]
	v_mul_f64 v[36:37], v[36:37], v[120:121]
	s_waitcnt vmcnt(4)
	v_mul_f64 v[154:155], v[40:41], v[122:123]
	v_mul_f64 v[40:41], v[40:41], v[124:125]
	s_waitcnt vmcnt(3)
	v_mul_f64 v[156:157], v[32:33], v[126:127]
	s_waitcnt vmcnt(2)
	v_mul_f64 v[158:159], v[48:49], v[130:131]
	v_mul_f64 v[32:33], v[32:33], v[128:129]
	;; [unrolled: 1-line block ×5, first 2 shown]
	s_waitcnt lgkmcnt(0)
	v_fma_f64 v[112:113], v[88:89], v[112:113], v[148:149]
	v_fma_f64 v[84:85], v[88:89], v[110:111], -v[84:85]
	v_fma_f64 v[88:89], v[56:57], v[116:117], v[150:151]
	v_fma_f64 v[28:29], v[56:57], v[114:115], -v[28:29]
	;; [unrolled: 2-line block ×3, first 2 shown]
	v_fma_f64 v[64:65], v[52:53], v[124:125], v[154:155]
	v_fma_f64 v[110:111], v[60:61], v[128:129], v[156:157]
	;; [unrolled: 1-line block ×3, first 2 shown]
	v_fma_f64 v[40:41], v[52:53], v[122:123], -v[40:41]
	v_fma_f64 v[32:33], v[60:61], v[126:127], -v[32:33]
	;; [unrolled: 1-line block ×3, first 2 shown]
	v_fma_f64 v[96:97], v[70:71], v[96:97], v[142:143]
	v_fma_f64 v[52:53], v[70:71], v[94:95], -v[50:51]
	v_add_f64 v[50:51], v[56:57], -v[88:89]
	v_add_f64 v[68:69], v[64:65], -v[110:111]
	;; [unrolled: 1-line block ×3, first 2 shown]
	v_add_f64 v[56:57], v[56:57], v[88:89]
	v_add_f64 v[116:117], v[40:41], v[32:33]
	;; [unrolled: 1-line block ×6, first 2 shown]
	v_add_f64 v[28:29], v[36:37], -v[28:29]
	v_add_f64 v[32:33], v[40:41], -v[32:33]
	;; [unrolled: 1-line block ×3, first 2 shown]
	v_add_f64 v[40:41], v[50:51], v[68:69]
	v_add_f64 v[48:49], v[50:51], -v[68:69]
	v_add_f64 v[84:85], v[70:71], -v[50:51]
	v_add_f64 v[50:51], v[116:117], v[118:119]
	v_add_f64 v[114:115], v[64:65], v[88:89]
	v_add_f64 v[110:111], v[94:95], -v[116:117]
	v_add_f64 v[112:113], v[118:119], -v[94:95]
	;; [unrolled: 1-line block ×6, first 2 shown]
	v_add_f64 v[120:121], v[28:29], v[32:33]
	v_add_f64 v[68:69], v[68:69], -v[70:71]
	v_add_f64 v[122:123], v[28:29], -v[32:33]
	;; [unrolled: 1-line block ×3, first 2 shown]
	v_add_f64 v[94:95], v[94:95], v[50:51]
	v_add_f64 v[56:57], v[56:57], v[114:115]
	v_add_f64 v[28:29], v[36:37], -v[28:29]
	v_mul_f64 v[112:113], v[112:113], s[26:27]
	v_add_f64 v[40:41], v[40:41], v[70:71]
	v_mul_f64 v[70:71], v[110:111], s[18:19]
	v_mul_f64 v[114:115], v[48:49], s[22:23]
	v_add_f64 v[36:37], v[120:121], v[36:37]
	v_mul_f64 v[120:121], v[68:69], s[16:17]
	v_mul_f64 v[124:125], v[32:33], s[16:17]
	;; [unrolled: 1-line block ×5, first 2 shown]
	v_add_f64 v[50:51], v[86:87], v[94:95]
	v_add_f64 v[48:49], v[82:83], v[56:57]
	v_mul_f64 v[98:99], v[30:31], v[90:91]
	v_fma_f64 v[82:83], v[110:111], s[18:19], v[112:113]
	v_fma_f64 v[86:87], v[116:117], s[20:21], -v[112:113]
	v_fma_f64 v[70:71], v[116:117], s[24:25], -v[70:71]
	;; [unrolled: 1-line block ×3, first 2 shown]
	v_fma_f64 v[84:85], v[84:85], s[10:11], v[114:115]
	v_fma_f64 v[68:69], v[68:69], s[16:17], -v[114:115]
	v_fma_f64 v[112:113], v[28:29], s[12:13], -v[124:125]
	v_fma_f64 v[28:29], v[28:29], s[10:11], v[122:123]
	v_fma_f64 v[32:33], v[32:33], s[16:17], -v[122:123]
	v_fma_f64 v[114:115], v[118:119], s[18:19], v[88:89]
	v_fma_f64 v[94:95], v[94:95], s[6:7], v[50:51]
	;; [unrolled: 1-line block ×3, first 2 shown]
	v_fma_f64 v[88:89], v[64:65], s[20:21], -v[88:89]
	v_fma_f64 v[64:65], v[64:65], s[24:25], -v[126:127]
	v_fma_f64 v[98:99], v[58:59], v[92:93], v[98:99]
	v_fma_f64 v[60:61], v[54:55], v[104:105], v[144:145]
	;; [unrolled: 1-line block ×4, first 2 shown]
	v_add_f64 v[120:121], v[82:83], v[94:95]
	v_add_f64 v[114:115], v[114:115], v[56:57]
	;; [unrolled: 1-line block ×4, first 2 shown]
	v_fma_f64 v[36:37], v[36:37], s[4:5], v[32:33]
	v_add_f64 v[32:33], v[70:71], v[94:95]
	v_add_f64 v[56:57], v[64:65], v[56:57]
	v_fma_f64 v[64:65], v[66:67], v[108:109], v[146:147]
	s_waitcnt vmcnt(0)
	v_mul_f64 v[28:29], v[26:27], v[138:139]
	v_mul_f64 v[94:95], v[34:35], v[134:135]
	;; [unrolled: 1-line block ×6, first 2 shown]
	v_add_f64 v[104:105], v[98:99], -v[60:61]
	v_mul_f64 v[30:31], v[30:31], v[92:93]
	v_add_f64 v[92:93], v[96:97], -v[64:65]
	v_fma_f64 v[108:109], v[46:47], v[140:141], v[28:29]
	v_fma_f64 v[94:95], v[62:63], v[136:137], v[94:95]
	v_fma_f64 v[38:39], v[66:67], v[106:107], -v[38:39]
	v_fma_f64 v[46:47], v[46:47], v[138:139], -v[26:27]
	;; [unrolled: 1-line block ×5, first 2 shown]
	v_add_f64 v[34:35], v[104:105], -v[92:93]
	v_add_f64 v[82:83], v[88:89], -v[112:113]
	v_add_f64 v[26:27], v[36:37], v[56:57]
	v_add_f64 v[66:67], v[52:53], v[38:39]
	v_add_f64 v[30:31], v[56:57], -v[36:37]
	v_add_f64 v[90:91], v[46:47], v[62:63]
	v_add_f64 v[64:65], v[96:97], v[64:65]
	;; [unrolled: 1-line block ×3, first 2 shown]
	v_mul_f64 v[102:103], v[34:35], s[22:23]
	v_add_f64 v[34:35], v[112:113], v[88:89]
	v_add_f64 v[88:89], v[108:109], v[94:95]
	v_add_f64 v[58:59], v[108:109], -v[94:95]
	v_add_f64 v[60:61], v[98:99], v[60:61]
	v_add_f64 v[106:107], v[66:67], v[90:91]
	v_fma_f64 v[110:111], v[40:41], s[4:5], v[110:111]
	v_add_f64 v[94:95], v[90:91], -v[56:57]
	v_add_f64 v[54:55], v[54:55], -v[42:43]
	v_fma_f64 v[116:117], v[40:41], s[4:5], v[84:85]
	v_add_f64 v[98:99], v[64:65], v[88:89]
	v_add_f64 v[52:53], v[52:53], -v[38:39]
	v_add_f64 v[42:43], v[88:89], -v[60:61]
	v_add_f64 v[106:107], v[56:57], v[106:107]
	v_add_f64 v[56:57], v[56:57], -v[66:67]
	v_mul_f64 v[94:95], v[94:95], s[26:27]
	v_add_f64 v[84:85], v[110:111], v[86:87]
	v_add_f64 v[36:37], v[86:87], -v[110:111]
	v_add_f64 v[98:99], v[60:61], v[98:99]
	v_add_f64 v[86:87], v[104:105], v[92:93]
	v_add_f64 v[46:47], v[46:47], -v[62:63]
	v_add_f64 v[44:45], v[44:45], v[106:107]
	v_mul_f64 v[108:109], v[56:57], s[18:19]
	v_fma_f64 v[56:57], v[56:57], s[18:19], v[94:95]
	v_add_f64 v[60:61], v[60:61], -v[64:65]
	v_add_f64 v[104:105], v[58:59], -v[104:105]
	;; [unrolled: 1-line block ×3, first 2 shown]
	v_add_f64 v[86:87], v[86:87], v[58:59]
	v_add_f64 v[58:59], v[92:93], -v[58:59]
	v_fma_f64 v[62:63], v[106:107], s[6:7], v[44:45]
	v_mul_f64 v[106:107], v[42:43], s[26:27]
	v_add_f64 v[42:43], v[24:25], v[98:99]
	v_add_f64 v[24:25], v[54:55], v[52:53]
	v_add_f64 v[66:67], v[66:67], -v[90:91]
	v_add_f64 v[52:53], v[52:53], -v[46:47]
	v_fma_f64 v[40:41], v[40:41], s[4:5], v[68:69]
	v_add_f64 v[68:69], v[114:115], -v[118:119]
	v_add_f64 v[112:113], v[56:57], v[62:63]
	v_fma_f64 v[56:57], v[60:61], s[18:19], v[106:107]
	v_fma_f64 v[98:99], v[98:99], s[6:7], v[42:43]
	v_add_f64 v[38:39], v[118:119], v[114:115]
	v_mul_f64 v[92:93], v[110:111], s[22:23]
	v_add_f64 v[110:111], v[46:47], -v[54:55]
	v_add_f64 v[24:25], v[24:25], v[46:47]
	v_mul_f64 v[46:47], v[58:59], s[16:17]
	v_add_f64 v[64:65], v[64:65], -v[88:89]
	v_mul_f64 v[60:61], v[60:61], s[18:19]
	v_add_f64 v[114:115], v[56:57], v[98:99]
	v_fma_f64 v[56:57], v[66:67], s[20:21], -v[94:95]
	v_mul_f64 v[88:89], v[52:53], s[16:17]
	v_fma_f64 v[96:97], v[104:105], s[10:11], v[102:103]
	v_fma_f64 v[90:91], v[110:111], s[10:11], v[92:93]
	v_fma_f64 v[46:47], v[104:105], s[12:13], -v[46:47]
	v_fma_f64 v[66:67], v[66:67], s[24:25], -v[108:109]
	;; [unrolled: 1-line block ×4, first 2 shown]
	v_add_f64 v[92:93], v[56:57], v[62:63]
	v_fma_f64 v[56:57], v[64:65], s[24:25], -v[60:61]
	v_fma_f64 v[88:89], v[110:111], s[12:13], -v[88:89]
	v_mul_hi_u32 v60, v100, s29
	v_fma_f64 v[94:95], v[64:65], s[20:21], -v[106:107]
	v_fma_f64 v[96:97], v[86:87], s[4:5], v[96:97]
	v_fma_f64 v[46:47], v[86:87], s[4:5], v[46:47]
	v_add_f64 v[64:65], v[66:67], v[62:63]
	v_fma_f64 v[66:67], v[86:87], s[4:5], v[58:59]
	v_add_f64 v[86:87], v[56:57], v[98:99]
	v_lshrrev_b32_e32 v56, 7, v60
	v_mul_lo_u32 v80, v56, s28
	v_fma_f64 v[90:91], v[24:25], s[4:5], v[90:91]
	v_fma_f64 v[102:103], v[24:25], s[4:5], v[88:89]
	;; [unrolled: 1-line block ×3, first 2 shown]
	v_sub_u32_e32 v80, v100, v80
	v_add_f64 v[94:95], v[94:95], v[98:99]
	v_mad_u64_u32 v[98:99], s[30:31], s2, v80, 0
	v_add_f64 v[62:63], v[64:65], -v[66:67]
	v_add_f64 v[66:67], v[66:67], v[64:65]
	v_add_f64 v[58:59], v[46:47], v[92:93]
	;; [unrolled: 1-line block ×3, first 2 shown]
	v_add_f64 v[64:65], v[86:87], -v[24:25]
	v_mov_b32_e32 v24, v99
	v_mad_u64_u32 v[24:25], s[30:31], s3, v80, v[24:25]
	v_add_f64 v[56:57], v[94:95], -v[102:103]
	v_add_f64 v[88:89], v[92:93], -v[46:47]
	v_mov_b32_e32 v99, v24
	v_lshlrev_b64 v[24:25], 4, v[74:75]
	v_add_f64 v[86:87], v[102:103], v[94:95]
	v_mov_b32_e32 v46, s15
	v_add_co_u32_e32 v74, vcc, s14, v24
	v_add_u32_e32 v94, 0x87, v80
	v_addc_co_u32_e32 v75, vcc, v46, v25, vcc
	v_mad_u64_u32 v[46:47], s[14:15], s2, v94, 0
	v_lshlrev_b64 v[24:25], 4, v[72:73]
	v_lshlrev_b64 v[72:73], 4, v[98:99]
	v_add_co_u32_e32 v24, vcc, v74, v24
	v_addc_co_u32_e32 v25, vcc, v75, v25, vcc
	v_mad_u64_u32 v[74:75], s[14:15], s3, v94, v[47:48]
	v_add_co_u32_e32 v72, vcc, v24, v72
	v_addc_co_u32_e32 v73, vcc, v25, v73, vcc
	v_mov_b32_e32 v47, v74
	global_store_dwordx4 v[72:73], v[42:45], off
	v_add_f64 v[52:53], v[114:115], -v[90:91]
	v_lshlrev_b64 v[42:43], 4, v[46:47]
	v_add_u32_e32 v46, 0x10e, v80
	v_mad_u64_u32 v[44:45], s[14:15], s2, v46, 0
	v_add_f64 v[92:93], v[112:113], -v[96:97]
	v_add_f64 v[90:91], v[90:91], v[114:115]
	v_mad_u64_u32 v[45:46], s[14:15], s3, v46, v[45:46]
	v_add_u32_e32 v72, 0x195, v80
	v_mad_u64_u32 v[46:47], s[14:15], s2, v72, 0
	v_add_co_u32_e32 v42, vcc, v24, v42
	v_addc_co_u32_e32 v43, vcc, v25, v43, vcc
	global_store_dwordx4 v[42:43], v[90:93], off
	v_lshlrev_b64 v[42:43], 4, v[44:45]
	v_mov_b32_e32 v44, v47
	v_mad_u64_u32 v[44:45], s[14:15], s3, v72, v[44:45]
	v_add_co_u32_e32 v42, vcc, v24, v42
	v_addc_co_u32_e32 v43, vcc, v25, v43, vcc
	v_mov_b32_e32 v47, v44
	global_store_dwordx4 v[42:43], v[86:89], off
	v_lshlrev_b64 v[42:43], 4, v[46:47]
	v_add_u32_e32 v46, 0x21c, v80
	v_mad_u64_u32 v[44:45], s[14:15], s2, v46, 0
	v_add_u32_e32 v72, 0x2a3, v80
	v_add_co_u32_e32 v42, vcc, v24, v42
	v_mad_u64_u32 v[45:46], s[14:15], s3, v46, v[45:46]
	v_mad_u64_u32 v[46:47], s[14:15], s2, v72, 0
	v_addc_co_u32_e32 v43, vcc, v25, v43, vcc
	global_store_dwordx4 v[42:43], v[64:67], off
	v_lshlrev_b64 v[42:43], 4, v[44:45]
	v_mov_b32_e32 v44, v47
	v_mad_u64_u32 v[44:45], s[14:15], s3, v72, v[44:45]
	v_add_co_u32_e32 v42, vcc, v24, v42
	v_addc_co_u32_e32 v43, vcc, v25, v43, vcc
	v_mov_b32_e32 v47, v44
	global_store_dwordx4 v[42:43], v[60:63], off
	v_lshlrev_b64 v[42:43], 4, v[46:47]
	v_add_u32_e32 v46, 63, v100
	v_mul_hi_u32 v47, v46, s29
	v_add_u32_e32 v60, 0x32a, v80
	v_mad_u64_u32 v[44:45], s[14:15], s2, v60, 0
	v_lshrrev_b32_e32 v47, 7, v47
	v_mul_lo_u32 v61, v47, s28
	s_movk_i32 s14, 0x3b1
	v_add_co_u32_e32 v42, vcc, v24, v42
	v_sub_u32_e32 v46, v46, v61
	v_mad_u64_u32 v[46:47], s[14:15], v47, s14, v[46:47]
	v_addc_co_u32_e32 v43, vcc, v25, v43, vcc
	v_mad_u64_u32 v[60:61], s[14:15], s3, v60, v[45:46]
	v_mad_u64_u32 v[61:62], s[14:15], s2, v46, 0
	v_mov_b32_e32 v45, v60
	global_store_dwordx4 v[42:43], v[56:59], off
	v_lshlrev_b64 v[42:43], 4, v[44:45]
	v_mov_b32_e32 v44, v62
	v_add_f64 v[54:55], v[96:97], v[112:113]
	v_mad_u64_u32 v[44:45], s[14:15], s3, v46, v[44:45]
	v_add_u32_e32 v47, 0x87, v46
	v_add_co_u32_e32 v42, vcc, v24, v42
	v_mov_b32_e32 v62, v44
	v_mad_u64_u32 v[44:45], s[14:15], s2, v47, 0
	v_addc_co_u32_e32 v43, vcc, v25, v43, vcc
	global_store_dwordx4 v[42:43], v[52:55], off
	v_add_f64 v[28:29], v[32:33], -v[40:41]
	v_mad_u64_u32 v[52:53], s[14:15], s3, v47, v[45:46]
	v_add_f64 v[32:33], v[40:41], v[32:33]
	v_add_f64 v[40:41], v[120:121], -v[116:117]
	v_lshlrev_b64 v[42:43], 4, v[61:62]
	v_add_u32_e32 v47, 0x10e, v46
	v_add_co_u32_e32 v42, vcc, v24, v42
	v_addc_co_u32_e32 v43, vcc, v25, v43, vcc
	v_mad_u64_u32 v[53:54], s[14:15], s2, v47, 0
	v_mov_b32_e32 v45, v52
	global_store_dwordx4 v[42:43], v[48:51], off
	v_lshlrev_b64 v[42:43], 4, v[44:45]
	v_mov_b32_e32 v44, v54
	v_add_co_u32_e32 v42, vcc, v24, v42
	v_addc_co_u32_e32 v43, vcc, v25, v43, vcc
	v_mad_u64_u32 v[44:45], s[14:15], s3, v47, v[44:45]
	global_store_dwordx4 v[42:43], v[38:41], off
	v_add_u32_e32 v42, 0x195, v46
	v_mad_u64_u32 v[40:41], s[14:15], s2, v42, 0
	v_mov_b32_e32 v54, v44
	v_lshlrev_b64 v[38:39], 4, v[53:54]
	v_mad_u64_u32 v[41:42], s[14:15], s3, v42, v[41:42]
	v_add_co_u32_e32 v38, vcc, v24, v38
	v_addc_co_u32_e32 v39, vcc, v25, v39, vcc
	v_add_u32_e32 v44, 0x21c, v46
	v_mad_u64_u32 v[42:43], s[14:15], s2, v44, 0
	global_store_dwordx4 v[38:39], v[34:37], off
	v_add_f64 v[70:71], v[116:117], v[120:121]
	v_lshlrev_b64 v[34:35], 4, v[40:41]
	v_mov_b32_e32 v36, v43
	v_add_co_u32_e32 v34, vcc, v24, v34
	v_addc_co_u32_e32 v35, vcc, v25, v35, vcc
	global_store_dwordx4 v[34:35], v[30:33], off
	v_add_u32_e32 v34, 0x2a3, v46
	v_mad_u64_u32 v[36:37], s[14:15], s3, v44, v[36:37]
	v_mad_u64_u32 v[32:33], s[14:15], s2, v34, 0
	v_mov_b32_e32 v43, v36
	v_add_u32_e32 v36, 0x32a, v46
	v_mad_u64_u32 v[33:34], s[14:15], s3, v34, v[33:34]
	v_lshlrev_b64 v[30:31], 4, v[42:43]
	v_mad_u64_u32 v[34:35], s[14:15], s2, v36, 0
	v_add_co_u32_e32 v30, vcc, v24, v30
	v_addc_co_u32_e32 v31, vcc, v25, v31, vcc
	global_store_dwordx4 v[30:31], v[26:29], off
	s_nop 0
	v_mov_b32_e32 v28, v35
	v_mad_u64_u32 v[28:29], s[14:15], s3, v36, v[28:29]
	v_lshlrev_b64 v[26:27], 4, v[32:33]
	v_add_co_u32_e32 v26, vcc, v24, v26
	v_addc_co_u32_e32 v27, vcc, v25, v27, vcc
	v_mov_b32_e32 v35, v28
	global_store_dwordx4 v[26:27], v[82:85], off
	v_lshlrev_b64 v[26:27], 4, v[34:35]
	v_add_co_u32_e32 v26, vcc, v24, v26
	v_addc_co_u32_e32 v27, vcc, v25, v27, vcc
	global_store_dwordx4 v[26:27], v[68:71], off
	v_add_u32_e32 v26, 0x7e, v100
	v_cmp_gt_u32_e32 vcc, s28, v26
	s_and_b64 exec, exec, vcc
	s_cbranch_execz .LBB0_20
; %bb.19:
	v_add_u32_e32 v27, -9, v100
	v_cndmask_b32_e64 v27, v27, v101, s[0:1]
	v_mul_i32_i24_e32 v80, 6, v27
	v_lshlrev_b64 v[27:28], 4, v[80:81]
	v_mov_b32_e32 v29, s9
	v_add_co_u32_e32 v51, vcc, s8, v27
	v_addc_co_u32_e32 v52, vcc, v29, v28, vcc
	global_load_dwordx4 v[27:30], v[51:52], off offset:2112
	global_load_dwordx4 v[31:34], v[51:52], off offset:2128
	;; [unrolled: 1-line block ×6, first 2 shown]
	v_add_u32_e32 v61, 0x105, v100
	v_mad_u64_u32 v[51:52], s[0:1], s2, v26, 0
	v_add_u32_e32 v62, 0x18c, v100
	v_mad_u64_u32 v[53:54], s[0:1], s2, v61, 0
	v_mad_u64_u32 v[55:56], s[0:1], s2, v62, 0
	;; [unrolled: 1-line block ×3, first 2 shown]
	v_mov_b32_e32 v26, v54
	v_mov_b32_e32 v52, v56
	v_add_u32_e32 v71, 0x213, v100
	v_mad_u64_u32 v[57:58], s[0:1], s2, v71, 0
	s_waitcnt vmcnt(5)
	v_mad_u64_u32 v[60:61], s[0:1], s3, v61, v[26:27]
	v_mad_u64_u32 v[61:62], s[0:1], s3, v62, v[52:53]
	v_mov_b32_e32 v52, v59
	v_mov_b32_e32 v54, v60
	;; [unrolled: 1-line block ×3, first 2 shown]
	v_mul_f64 v[59:60], v[20:21], v[29:30]
	v_mul_f64 v[29:30], v[8:9], v[29:30]
	s_waitcnt vmcnt(4)
	v_mul_f64 v[61:62], v[22:23], v[33:34]
	v_mul_f64 v[33:34], v[10:11], v[33:34]
	s_waitcnt vmcnt(1)
	;; [unrolled: 3-line block ×3, first 2 shown]
	v_mul_f64 v[69:70], v[16:17], v[49:50]
	v_mul_f64 v[49:50], v[4:5], v[49:50]
	;; [unrolled: 1-line block ×6, first 2 shown]
	v_fma_f64 v[8:9], v[8:9], v[27:28], v[59:60]
	v_fma_f64 v[20:21], v[20:21], v[27:28], -v[29:30]
	v_fma_f64 v[10:11], v[10:11], v[31:32], v[61:62]
	v_fma_f64 v[22:23], v[22:23], v[31:32], -v[33:34]
	;; [unrolled: 2-line block ×6, first 2 shown]
	v_add_f64 v[26:27], v[8:9], v[6:7]
	v_add_f64 v[28:29], v[20:21], v[18:19]
	v_add_f64 v[6:7], v[8:9], -v[6:7]
	v_add_f64 v[8:9], v[20:21], -v[18:19]
	v_add_f64 v[18:19], v[10:11], v[4:5]
	v_add_f64 v[20:21], v[22:23], v[16:17]
	v_add_f64 v[4:5], v[10:11], -v[4:5]
	v_add_f64 v[10:11], v[22:23], -v[16:17]
	;; [unrolled: 4-line block ×4, first 2 shown]
	v_add_f64 v[26:27], v[26:27], -v[16:17]
	v_add_f64 v[28:29], v[28:29], -v[22:23]
	;; [unrolled: 1-line block ×4, first 2 shown]
	v_add_f64 v[34:35], v[0:1], v[4:5]
	v_add_f64 v[36:37], v[2:3], v[10:11]
	v_add_f64 v[38:39], v[0:1], -v[4:5]
	v_add_f64 v[40:41], v[2:3], -v[10:11]
	v_add_f64 v[12:13], v[16:17], v[12:13]
	v_add_f64 v[14:15], v[22:23], v[14:15]
	v_add_f64 v[4:5], v[4:5], -v[6:7]
	v_add_f64 v[10:11], v[10:11], -v[8:9]
	;; [unrolled: 1-line block ×4, first 2 shown]
	v_add_f64 v[6:7], v[34:35], v[6:7]
	v_add_f64 v[8:9], v[36:37], v[8:9]
	v_mul_f64 v[16:17], v[26:27], s[26:27]
	v_mul_f64 v[22:23], v[28:29], s[26:27]
	;; [unrolled: 1-line block ×6, first 2 shown]
	v_add_f64 v[0:1], v[76:77], v[12:13]
	v_add_f64 v[2:3], v[78:79], v[14:15]
	v_mul_f64 v[38:39], v[4:5], s[16:17]
	v_mul_f64 v[40:41], v[10:11], s[16:17]
	v_fma_f64 v[18:19], v[18:19], s[18:19], v[16:17]
	v_fma_f64 v[20:21], v[20:21], s[18:19], v[22:23]
	v_fma_f64 v[26:27], v[30:31], s[24:25], -v[26:27]
	v_fma_f64 v[28:29], v[32:33], s[24:25], -v[28:29]
	;; [unrolled: 1-line block ×4, first 2 shown]
	v_fma_f64 v[30:31], v[42:43], s[10:11], v[34:35]
	v_fma_f64 v[32:33], v[44:45], s[10:11], v[36:37]
	;; [unrolled: 1-line block ×4, first 2 shown]
	v_fma_f64 v[4:5], v[4:5], s[16:17], -v[34:35]
	v_fma_f64 v[10:11], v[10:11], s[16:17], -v[36:37]
	;; [unrolled: 1-line block ×4, first 2 shown]
	v_fma_f64 v[30:31], v[6:7], s[4:5], v[30:31]
	v_fma_f64 v[32:33], v[8:9], s[4:5], v[32:33]
	v_add_f64 v[42:43], v[18:19], v[12:13]
	v_add_f64 v[44:45], v[20:21], v[14:15]
	v_lshlrev_b64 v[51:52], 4, v[51:52]
	v_add_f64 v[16:17], v[16:17], v[12:13]
	v_add_co_u32_e32 v51, vcc, v24, v51
	v_addc_co_u32_e32 v52, vcc, v25, v52, vcc
	v_fma_f64 v[34:35], v[6:7], s[4:5], v[34:35]
	v_fma_f64 v[36:37], v[8:9], s[4:5], v[36:37]
	v_add_f64 v[22:23], v[22:23], v[14:15]
	global_store_dwordx4 v[51:52], v[0:3], off
	v_fma_f64 v[38:39], v[6:7], s[4:5], v[4:5]
	v_add_f64 v[0:1], v[32:33], v[42:43]
	v_add_f64 v[2:3], v[44:45], -v[30:31]
	v_fma_f64 v[40:41], v[8:9], s[4:5], v[10:11]
	v_add_f64 v[18:19], v[26:27], v[12:13]
	v_add_f64 v[20:21], v[28:29], v[14:15]
	v_lshlrev_b64 v[53:54], 4, v[53:54]
	v_add_f64 v[4:5], v[36:37], v[16:17]
	v_add_co_u32_e32 v53, vcc, v24, v53
	v_addc_co_u32_e32 v54, vcc, v25, v54, vcc
	v_add_f64 v[6:7], v[22:23], -v[34:35]
	global_store_dwordx4 v[53:54], v[0:3], off
	v_add_u32_e32 v28, 0x29a, v100
	v_mov_b32_e32 v0, v58
	v_mad_u64_u32 v[0:1], s[0:1], s3, v71, v[0:1]
	v_mad_u64_u32 v[1:2], s[0:1], s2, v28, 0
	v_lshlrev_b64 v[55:56], 4, v[55:56]
	v_add_f64 v[8:9], v[18:19], -v[40:41]
	v_add_f64 v[10:11], v[38:39], v[20:21]
	v_add_co_u32_e32 v26, vcc, v24, v55
	v_addc_co_u32_e32 v27, vcc, v25, v56, vcc
	v_mov_b32_e32 v58, v0
	v_mov_b32_e32 v0, v2
	global_store_dwordx4 v[26:27], v[4:7], off
	v_add_f64 v[12:13], v[40:41], v[18:19]
	v_lshlrev_b64 v[3:4], 4, v[57:58]
	v_mad_u64_u32 v[5:6], s[0:1], s3, v28, v[0:1]
	v_add_co_u32_e32 v2, vcc, v24, v3
	v_addc_co_u32_e32 v3, vcc, v25, v4, vcc
	global_store_dwordx4 v[2:3], v[8:11], off
	v_mov_b32_e32 v2, v5
	v_add_u32_e32 v4, 0x321, v100
	v_lshlrev_b64 v[0:1], 4, v[1:2]
	v_mad_u64_u32 v[2:3], s[0:1], s2, v4, 0
	v_add_f64 v[14:15], v[20:21], -v[38:39]
	v_add_u32_e32 v6, 0x3a8, v100
	v_mad_u64_u32 v[3:4], s[0:1], s3, v4, v[3:4]
	v_mad_u64_u32 v[4:5], s[0:1], s2, v6, 0
	v_add_f64 v[16:17], v[16:17], -v[36:37]
	v_add_f64 v[18:19], v[34:35], v[22:23]
	v_add_co_u32_e32 v0, vcc, v24, v0
	v_addc_co_u32_e32 v1, vcc, v25, v1, vcc
	global_store_dwordx4 v[0:1], v[12:15], off
	v_lshlrev_b64 v[0:1], 4, v[2:3]
	v_mov_b32_e32 v2, v5
	v_mad_u64_u32 v[2:3], s[0:1], s3, v6, v[2:3]
	v_add_f64 v[20:21], v[42:43], -v[32:33]
	v_add_f64 v[22:23], v[30:31], v[44:45]
	v_add_co_u32_e32 v0, vcc, v24, v0
	v_addc_co_u32_e32 v1, vcc, v25, v1, vcc
	v_mov_b32_e32 v5, v2
	global_store_dwordx4 v[0:1], v[16:19], off
	v_lshlrev_b64 v[0:1], 4, v[4:5]
	v_add_co_u32_e32 v0, vcc, v24, v0
	v_addc_co_u32_e32 v1, vcc, v25, v1, vcc
	global_store_dwordx4 v[0:1], v[20:23], off
.LBB0_20:
	s_endpgm
	.section	.rodata,"a",@progbits
	.p2align	6, 0x0
	.amdhsa_kernel fft_rtc_back_len945_factors_3_3_3_5_7_wgs_63_tpt_63_halfLds_dp_op_CI_CI_sbrr_dirReg
		.amdhsa_group_segment_fixed_size 0
		.amdhsa_private_segment_fixed_size 0
		.amdhsa_kernarg_size 104
		.amdhsa_user_sgpr_count 6
		.amdhsa_user_sgpr_private_segment_buffer 1
		.amdhsa_user_sgpr_dispatch_ptr 0
		.amdhsa_user_sgpr_queue_ptr 0
		.amdhsa_user_sgpr_kernarg_segment_ptr 1
		.amdhsa_user_sgpr_dispatch_id 0
		.amdhsa_user_sgpr_flat_scratch_init 0
		.amdhsa_user_sgpr_private_segment_size 0
		.amdhsa_uses_dynamic_stack 0
		.amdhsa_system_sgpr_private_segment_wavefront_offset 0
		.amdhsa_system_sgpr_workgroup_id_x 1
		.amdhsa_system_sgpr_workgroup_id_y 0
		.amdhsa_system_sgpr_workgroup_id_z 0
		.amdhsa_system_sgpr_workgroup_info 0
		.amdhsa_system_vgpr_workitem_id 0
		.amdhsa_next_free_vgpr 160
		.amdhsa_next_free_sgpr 32
		.amdhsa_reserve_vcc 1
		.amdhsa_reserve_flat_scratch 0
		.amdhsa_float_round_mode_32 0
		.amdhsa_float_round_mode_16_64 0
		.amdhsa_float_denorm_mode_32 3
		.amdhsa_float_denorm_mode_16_64 3
		.amdhsa_dx10_clamp 1
		.amdhsa_ieee_mode 1
		.amdhsa_fp16_overflow 0
		.amdhsa_exception_fp_ieee_invalid_op 0
		.amdhsa_exception_fp_denorm_src 0
		.amdhsa_exception_fp_ieee_div_zero 0
		.amdhsa_exception_fp_ieee_overflow 0
		.amdhsa_exception_fp_ieee_underflow 0
		.amdhsa_exception_fp_ieee_inexact 0
		.amdhsa_exception_int_div_zero 0
	.end_amdhsa_kernel
	.text
.Lfunc_end0:
	.size	fft_rtc_back_len945_factors_3_3_3_5_7_wgs_63_tpt_63_halfLds_dp_op_CI_CI_sbrr_dirReg, .Lfunc_end0-fft_rtc_back_len945_factors_3_3_3_5_7_wgs_63_tpt_63_halfLds_dp_op_CI_CI_sbrr_dirReg
                                        ; -- End function
	.section	.AMDGPU.csdata,"",@progbits
; Kernel info:
; codeLenInByte = 13328
; NumSgprs: 36
; NumVgprs: 160
; ScratchSize: 0
; MemoryBound: 1
; FloatMode: 240
; IeeeMode: 1
; LDSByteSize: 0 bytes/workgroup (compile time only)
; SGPRBlocks: 4
; VGPRBlocks: 39
; NumSGPRsForWavesPerEU: 36
; NumVGPRsForWavesPerEU: 160
; Occupancy: 1
; WaveLimiterHint : 1
; COMPUTE_PGM_RSRC2:SCRATCH_EN: 0
; COMPUTE_PGM_RSRC2:USER_SGPR: 6
; COMPUTE_PGM_RSRC2:TRAP_HANDLER: 0
; COMPUTE_PGM_RSRC2:TGID_X_EN: 1
; COMPUTE_PGM_RSRC2:TGID_Y_EN: 0
; COMPUTE_PGM_RSRC2:TGID_Z_EN: 0
; COMPUTE_PGM_RSRC2:TIDIG_COMP_CNT: 0
	.type	__hip_cuid_40bb7b88a6d49e68,@object ; @__hip_cuid_40bb7b88a6d49e68
	.section	.bss,"aw",@nobits
	.globl	__hip_cuid_40bb7b88a6d49e68
__hip_cuid_40bb7b88a6d49e68:
	.byte	0                               ; 0x0
	.size	__hip_cuid_40bb7b88a6d49e68, 1

	.ident	"AMD clang version 19.0.0git (https://github.com/RadeonOpenCompute/llvm-project roc-6.4.0 25133 c7fe45cf4b819c5991fe208aaa96edf142730f1d)"
	.section	".note.GNU-stack","",@progbits
	.addrsig
	.addrsig_sym __hip_cuid_40bb7b88a6d49e68
	.amdgpu_metadata
---
amdhsa.kernels:
  - .args:
      - .actual_access:  read_only
        .address_space:  global
        .offset:         0
        .size:           8
        .value_kind:     global_buffer
      - .offset:         8
        .size:           8
        .value_kind:     by_value
      - .actual_access:  read_only
        .address_space:  global
        .offset:         16
        .size:           8
        .value_kind:     global_buffer
      - .actual_access:  read_only
        .address_space:  global
        .offset:         24
        .size:           8
        .value_kind:     global_buffer
      - .actual_access:  read_only
        .address_space:  global
        .offset:         32
        .size:           8
        .value_kind:     global_buffer
      - .offset:         40
        .size:           8
        .value_kind:     by_value
      - .actual_access:  read_only
        .address_space:  global
        .offset:         48
        .size:           8
        .value_kind:     global_buffer
      - .actual_access:  read_only
        .address_space:  global
        .offset:         56
        .size:           8
        .value_kind:     global_buffer
      - .offset:         64
        .size:           4
        .value_kind:     by_value
      - .actual_access:  read_only
        .address_space:  global
        .offset:         72
        .size:           8
        .value_kind:     global_buffer
      - .actual_access:  read_only
        .address_space:  global
        .offset:         80
        .size:           8
        .value_kind:     global_buffer
      - .actual_access:  read_only
        .address_space:  global
        .offset:         88
        .size:           8
        .value_kind:     global_buffer
      - .actual_access:  write_only
        .address_space:  global
        .offset:         96
        .size:           8
        .value_kind:     global_buffer
    .group_segment_fixed_size: 0
    .kernarg_segment_align: 8
    .kernarg_segment_size: 104
    .language:       OpenCL C
    .language_version:
      - 2
      - 0
    .max_flat_workgroup_size: 63
    .name:           fft_rtc_back_len945_factors_3_3_3_5_7_wgs_63_tpt_63_halfLds_dp_op_CI_CI_sbrr_dirReg
    .private_segment_fixed_size: 0
    .sgpr_count:     36
    .sgpr_spill_count: 0
    .symbol:         fft_rtc_back_len945_factors_3_3_3_5_7_wgs_63_tpt_63_halfLds_dp_op_CI_CI_sbrr_dirReg.kd
    .uniform_work_group_size: 1
    .uses_dynamic_stack: false
    .vgpr_count:     160
    .vgpr_spill_count: 0
    .wavefront_size: 64
amdhsa.target:   amdgcn-amd-amdhsa--gfx906
amdhsa.version:
  - 1
  - 2
...

	.end_amdgpu_metadata
